;; amdgpu-corpus repo=pytorch/pytorch kind=compiled arch=gfx1250 opt=O3
	.amdgcn_target "amdgcn-amd-amdhsa--gfx1250"
	.amdhsa_code_object_version 6
	.section	.text._ZN2at6native12_GLOBAL__N_130MultiMarginLoss_forward_kernelILi1EdEEvPT0_PKS3_PKlS6_iibS3_,"axG",@progbits,_ZN2at6native12_GLOBAL__N_130MultiMarginLoss_forward_kernelILi1EdEEvPT0_PKS3_PKlS6_iibS3_,comdat
	.globl	_ZN2at6native12_GLOBAL__N_130MultiMarginLoss_forward_kernelILi1EdEEvPT0_PKS3_PKlS6_iibS3_ ; -- Begin function _ZN2at6native12_GLOBAL__N_130MultiMarginLoss_forward_kernelILi1EdEEvPT0_PKS3_PKlS6_iibS3_
	.p2align	8
	.type	_ZN2at6native12_GLOBAL__N_130MultiMarginLoss_forward_kernelILi1EdEEvPT0_PKS3_PKlS6_iibS3_,@function
_ZN2at6native12_GLOBAL__N_130MultiMarginLoss_forward_kernelILi1EdEEvPT0_PKS3_PKlS6_iibS3_: ; @_ZN2at6native12_GLOBAL__N_130MultiMarginLoss_forward_kernelILi1EdEEvPT0_PKS3_PKlS6_iibS3_
; %bb.0:
	s_load_b256 s[4:11], s[0:1], 0x0
	s_bfe_u32 s2, ttmp6, 0x4000c
	s_and_b32 s3, ttmp6, 15
	s_add_co_i32 s2, s2, 1
	s_getreg_b32 s12, hwreg(HW_REG_IB_STS2, 6, 4)
	s_mul_i32 s2, ttmp9, s2
	s_delay_alu instid0(SALU_CYCLE_1) | instskip(SKIP_2) | instid1(SALU_CYCLE_1)
	s_add_co_i32 s3, s3, s2
	s_cmp_eq_u32 s12, 0
	s_cselect_b32 s16, ttmp9, s3
	s_ashr_i32 s17, s16, 31
	s_delay_alu instid0(SALU_CYCLE_1)
	s_lshl_b64 s[2:3], s[16:17], 3
	s_wait_kmcnt 0x0
	s_add_nc_u64 s[8:9], s[8:9], s[2:3]
	s_load_b64 s[8:9], s[8:9], 0x0
	s_wait_kmcnt 0x0
	s_cmp_lt_i32 s8, 0
	s_cbranch_scc1 .LBB0_22
; %bb.1:
	s_load_b96 s[12:14], s[0:1], 0x20
	s_get_pc_i64 s[18:19]
	s_add_nc_u64 s[18:19], s[18:19], .str@rel64+4
	s_wait_kmcnt 0x0
	s_cmp_le_i32 s13, s8
	s_cselect_b32 s15, -1, 0
	s_cmp_eq_u64 s[18:19], 0
	s_cselect_b32 s17, -1, 0
	s_delay_alu instid0(SALU_CYCLE_1) | instskip(NEXT) | instid1(SALU_CYCLE_1)
	s_or_b32 s15, s15, s17
	s_and_not1_b32 vcc_lo, exec_lo, s15
	s_cbranch_vccz .LBB0_20
; %bb.2:
	s_load_b32 s17, s[0:1], 0x44
	v_mov_b64_e32 v[2:3], 0
	v_lshlrev_b32_e32 v4, 3, v0
	s_mov_b32 s18, exec_lo
	ds_store_b64 v4, v[2:3]
	s_wait_kmcnt 0x0
	s_and_b32 s17, s17, 0xffff
	v_cmpx_gt_u32_e64 s13, v0
	s_cbranch_execz .LBB0_9
; %bb.3:
	s_mul_i32 s20, s13, s16
	s_lshl_b64 s[22:23], s[8:9], 3
	s_ashr_i32 s21, s20, 31
	s_and_b64 s[22:23], s[22:23], 0x3fffffff8
	s_lshl_b64 s[20:21], s[20:21], 3
	v_dual_mov_b32 v5, 0 :: v_dual_mov_b32 v1, v0
	s_add_nc_u64 s[20:21], s[6:7], s[20:21]
	s_cmp_lg_u64 s[10:11], 0
	s_add_nc_u64 s[6:7], s[20:21], s[22:23]
	s_load_b64 s[24:25], s[6:7], 0x0
	s_load_b64 s[26:27], s[0:1], 0x30
	v_add_nc_u64_e32 v[8:9], s[20:21], v[4:5]
	s_wait_xcnt 0x0
	s_add_nc_u64 s[6:7], s[10:11], s[22:23]
	s_mov_b32 s11, 0
	s_cselect_b32 s1, -1, 0
	s_lshl_b32 s10, s17, 3
	s_mov_b32 s9, s11
	s_wait_kmcnt 0x0
	v_add_f64_e64 v[6:7], s[26:27], -s[24:25]
	s_branch .LBB0_6
.LBB0_4:                                ;   in Loop: Header=BB0_6 Depth=1
	s_delay_alu instid0(VALU_DEP_1)
	v_add_f64_e32 v[2:3], v[10:11], v[2:3]
	ds_store_b64 v4, v[2:3]
.LBB0_5:                                ;   in Loop: Header=BB0_6 Depth=1
	s_or_b32 exec_lo, exec_lo, s0
	v_add_nc_u32_e32 v1, s17, v1
	v_add_nc_u64_e32 v[8:9], s[10:11], v[8:9]
	s_delay_alu instid0(VALU_DEP_2) | instskip(SKIP_1) | instid1(SALU_CYCLE_1)
	v_cmp_le_i32_e32 vcc_lo, s13, v1
	s_or_b32 s9, vcc_lo, s9
	s_and_not1_b32 exec_lo, exec_lo, s9
	s_cbranch_execz .LBB0_9
.LBB0_6:                                ; =>This Inner Loop Header: Depth=1
	global_load_b64 v[10:11], v[8:9], off
	v_cmp_ne_u32_e64 s0, s8, v1
	s_wait_loadcnt 0x0
	v_add_f64_e32 v[10:11], v[6:7], v[10:11]
	s_delay_alu instid0(VALU_DEP_1) | instskip(SKIP_1) | instid1(SALU_CYCLE_1)
	v_cmp_lt_f64_e32 vcc_lo, 0, v[10:11]
	s_and_b32 s16, s0, vcc_lo
	s_and_saveexec_b32 s0, s16
	s_cbranch_execz .LBB0_5
; %bb.7:                                ;   in Loop: Header=BB0_6 Depth=1
	s_and_not1_b32 vcc_lo, exec_lo, s1
	s_cbranch_vccnz .LBB0_4
; %bb.8:                                ;   in Loop: Header=BB0_6 Depth=1
	s_load_b64 s[20:21], s[6:7], 0x0
	s_wait_kmcnt 0x0
	v_mul_f64_e32 v[10:11], s[20:21], v[10:11]
	s_branch .LBB0_4
.LBB0_9:
	s_or_b32 exec_lo, exec_lo, s18
	s_delay_alu instid0(SALU_CYCLE_1)
	s_mov_b32 s0, exec_lo
	s_wait_dscnt 0x0
	s_barrier_signal -1
	s_barrier_wait -1
	v_cmpx_eq_u32_e32 0, v0
	s_cbranch_execz .LBB0_19
; %bb.10:
	v_mov_b64_e32 v[0:1], 0
	s_cmp_eq_u32 s17, 0
	s_cbranch_scc1 .LBB0_18
; %bb.11:
	s_cmp_lt_u32 s17, 8
	s_cbranch_scc1 .LBB0_15
; %bb.12:
	s_and_b32 s1, s17, 0xfff8
	s_mov_b32 s6, 0
	s_mov_b32 s7, 0
.LBB0_13:                               ; =>This Inner Loop Header: Depth=1
	v_mov_b32_e32 v10, s6
	s_add_co_i32 s7, s7, 8
	s_add_co_i32 s6, s6, 64
	s_cmp_eq_u32 s1, s7
	ds_load_b128 v[2:5], v10
	ds_load_b128 v[6:9], v10 offset:16
	s_wait_dscnt 0x1
	v_add_f64_e32 v[0:1], v[0:1], v[2:3]
	s_delay_alu instid0(VALU_DEP_1) | instskip(SKIP_1) | instid1(VALU_DEP_1)
	v_add_f64_e32 v[0:1], v[0:1], v[4:5]
	s_wait_dscnt 0x0
	v_add_f64_e32 v[0:1], v[0:1], v[6:7]
	s_delay_alu instid0(VALU_DEP_1) | instskip(SKIP_4) | instid1(VALU_DEP_1)
	v_add_f64_e32 v[8:9], v[0:1], v[8:9]
	ds_load_b128 v[0:3], v10 offset:32
	ds_load_b128 v[4:7], v10 offset:48
	s_wait_dscnt 0x1
	v_add_f64_e32 v[0:1], v[8:9], v[0:1]
	v_add_f64_e32 v[0:1], v[0:1], v[2:3]
	s_wait_dscnt 0x0
	s_delay_alu instid0(VALU_DEP_1) | instskip(NEXT) | instid1(VALU_DEP_1)
	v_add_f64_e32 v[0:1], v[0:1], v[4:5]
	v_add_f64_e32 v[0:1], v[0:1], v[6:7]
	s_cbranch_scc0 .LBB0_13
; %bb.14:
	s_and_b32 s6, s17, 7
	s_delay_alu instid0(SALU_CYCLE_1)
	s_cmp_eq_u32 s6, 0
	s_cbranch_scc0 .LBB0_16
	s_branch .LBB0_18
.LBB0_15:
	s_mov_b32 s1, 0
	s_and_b32 s6, s17, 7
	s_delay_alu instid0(SALU_CYCLE_1)
	s_cmp_eq_u32 s6, 0
	s_cbranch_scc1 .LBB0_18
.LBB0_16:
	s_lshl_b32 s1, s1, 3
.LBB0_17:                               ; =>This Inner Loop Header: Depth=1
	s_delay_alu instid0(SALU_CYCLE_1)
	v_mov_b32_e32 v2, s1
	s_add_co_i32 s6, s6, -1
	s_add_co_i32 s1, s1, 8
	s_cmp_lg_u32 s6, 0
	ds_load_b64 v[2:3], v2
	s_wait_dscnt 0x0
	v_add_f64_e32 v[0:1], v[0:1], v[2:3]
	s_cbranch_scc1 .LBB0_17
.LBB0_18:
	s_and_b32 s1, 1, s14
	s_add_nc_u64 s[2:3], s[4:5], s[2:3]
	s_cmp_eq_u32 s1, 1
	s_cselect_b32 s1, s12, 1
	s_delay_alu instid0(SALU_CYCLE_1) | instskip(NEXT) | instid1(SALU_CYCLE_1)
	s_mul_i32 s1, s1, s13
	v_cvt_f64_i32_e32 v[2:3], s1
	s_delay_alu instid0(VALU_DEP_1) | instskip(NEXT) | instid1(VALU_DEP_1)
	v_div_scale_f64 v[4:5], null, v[2:3], v[2:3], v[0:1]
	v_rcp_f64_e32 v[6:7], v[4:5]
	v_nop
	s_delay_alu instid0(TRANS32_DEP_1) | instskip(NEXT) | instid1(VALU_DEP_1)
	v_fma_f64 v[8:9], -v[4:5], v[6:7], 1.0
	v_fmac_f64_e32 v[6:7], v[6:7], v[8:9]
	s_delay_alu instid0(VALU_DEP_1) | instskip(NEXT) | instid1(VALU_DEP_1)
	v_fma_f64 v[8:9], -v[4:5], v[6:7], 1.0
	v_fmac_f64_e32 v[6:7], v[6:7], v[8:9]
	v_div_scale_f64 v[8:9], vcc_lo, v[0:1], v[2:3], v[0:1]
	s_delay_alu instid0(VALU_DEP_1) | instskip(NEXT) | instid1(VALU_DEP_1)
	v_mul_f64_e32 v[10:11], v[8:9], v[6:7]
	v_fma_f64 v[4:5], -v[4:5], v[10:11], v[8:9]
	s_delay_alu instid0(VALU_DEP_1) | instskip(NEXT) | instid1(VALU_DEP_1)
	v_div_fmas_f64 v[4:5], v[4:5], v[6:7], v[10:11]
	v_div_fixup_f64 v[0:1], v[4:5], v[2:3], v[0:1]
	v_mov_b32_e32 v2, 0
	global_store_b64 v2, v[0:1], s[2:3]
.LBB0_19:
	s_wait_xcnt 0x0
	s_or_b32 exec_lo, exec_lo, s0
.LBB0_20:
	s_delay_alu instid0(SALU_CYCLE_1)
	s_and_b32 vcc_lo, exec_lo, s15
	s_cbranch_vccnz .LBB0_23
.LBB0_21:
	s_endpgm
.LBB0_22:
	s_cbranch_execz .LBB0_21
.LBB0_23:
	s_trap 2
	; divergent unreachable
	s_endpgm
	.section	.rodata,"a",@progbits
	.p2align	6, 0x0
	.amdhsa_kernel _ZN2at6native12_GLOBAL__N_130MultiMarginLoss_forward_kernelILi1EdEEvPT0_PKS3_PKlS6_iibS3_
		.amdhsa_group_segment_fixed_size 1024
		.amdhsa_private_segment_fixed_size 0
		.amdhsa_kernarg_size 312
		.amdhsa_user_sgpr_count 2
		.amdhsa_user_sgpr_dispatch_ptr 0
		.amdhsa_user_sgpr_queue_ptr 0
		.amdhsa_user_sgpr_kernarg_segment_ptr 1
		.amdhsa_user_sgpr_dispatch_id 0
		.amdhsa_user_sgpr_kernarg_preload_length 0
		.amdhsa_user_sgpr_kernarg_preload_offset 0
		.amdhsa_user_sgpr_private_segment_size 0
		.amdhsa_wavefront_size32 1
		.amdhsa_uses_dynamic_stack 0
		.amdhsa_enable_private_segment 0
		.amdhsa_system_sgpr_workgroup_id_x 1
		.amdhsa_system_sgpr_workgroup_id_y 0
		.amdhsa_system_sgpr_workgroup_id_z 0
		.amdhsa_system_sgpr_workgroup_info 0
		.amdhsa_system_vgpr_workitem_id 0
		.amdhsa_next_free_vgpr 12
		.amdhsa_next_free_sgpr 28
		.amdhsa_named_barrier_count 0
		.amdhsa_reserve_vcc 1
		.amdhsa_float_round_mode_32 0
		.amdhsa_float_round_mode_16_64 0
		.amdhsa_float_denorm_mode_32 3
		.amdhsa_float_denorm_mode_16_64 3
		.amdhsa_fp16_overflow 0
		.amdhsa_memory_ordered 1
		.amdhsa_forward_progress 1
		.amdhsa_inst_pref_size 7
		.amdhsa_round_robin_scheduling 0
		.amdhsa_exception_fp_ieee_invalid_op 0
		.amdhsa_exception_fp_denorm_src 0
		.amdhsa_exception_fp_ieee_div_zero 0
		.amdhsa_exception_fp_ieee_overflow 0
		.amdhsa_exception_fp_ieee_underflow 0
		.amdhsa_exception_fp_ieee_inexact 0
		.amdhsa_exception_int_div_zero 0
	.end_amdhsa_kernel
	.section	.text._ZN2at6native12_GLOBAL__N_130MultiMarginLoss_forward_kernelILi1EdEEvPT0_PKS3_PKlS6_iibS3_,"axG",@progbits,_ZN2at6native12_GLOBAL__N_130MultiMarginLoss_forward_kernelILi1EdEEvPT0_PKS3_PKlS6_iibS3_,comdat
.Lfunc_end0:
	.size	_ZN2at6native12_GLOBAL__N_130MultiMarginLoss_forward_kernelILi1EdEEvPT0_PKS3_PKlS6_iibS3_, .Lfunc_end0-_ZN2at6native12_GLOBAL__N_130MultiMarginLoss_forward_kernelILi1EdEEvPT0_PKS3_PKlS6_iibS3_
                                        ; -- End function
	.set _ZN2at6native12_GLOBAL__N_130MultiMarginLoss_forward_kernelILi1EdEEvPT0_PKS3_PKlS6_iibS3_.num_vgpr, 12
	.set _ZN2at6native12_GLOBAL__N_130MultiMarginLoss_forward_kernelILi1EdEEvPT0_PKS3_PKlS6_iibS3_.num_agpr, 0
	.set _ZN2at6native12_GLOBAL__N_130MultiMarginLoss_forward_kernelILi1EdEEvPT0_PKS3_PKlS6_iibS3_.numbered_sgpr, 28
	.set _ZN2at6native12_GLOBAL__N_130MultiMarginLoss_forward_kernelILi1EdEEvPT0_PKS3_PKlS6_iibS3_.num_named_barrier, 0
	.set _ZN2at6native12_GLOBAL__N_130MultiMarginLoss_forward_kernelILi1EdEEvPT0_PKS3_PKlS6_iibS3_.private_seg_size, 0
	.set _ZN2at6native12_GLOBAL__N_130MultiMarginLoss_forward_kernelILi1EdEEvPT0_PKS3_PKlS6_iibS3_.uses_vcc, 1
	.set _ZN2at6native12_GLOBAL__N_130MultiMarginLoss_forward_kernelILi1EdEEvPT0_PKS3_PKlS6_iibS3_.uses_flat_scratch, 0
	.set _ZN2at6native12_GLOBAL__N_130MultiMarginLoss_forward_kernelILi1EdEEvPT0_PKS3_PKlS6_iibS3_.has_dyn_sized_stack, 0
	.set _ZN2at6native12_GLOBAL__N_130MultiMarginLoss_forward_kernelILi1EdEEvPT0_PKS3_PKlS6_iibS3_.has_recursion, 0
	.set _ZN2at6native12_GLOBAL__N_130MultiMarginLoss_forward_kernelILi1EdEEvPT0_PKS3_PKlS6_iibS3_.has_indirect_call, 0
	.section	.AMDGPU.csdata,"",@progbits
; Kernel info:
; codeLenInByte = 876
; TotalNumSgprs: 30
; NumVgprs: 12
; ScratchSize: 0
; MemoryBound: 1
; FloatMode: 240
; IeeeMode: 1
; LDSByteSize: 1024 bytes/workgroup (compile time only)
; SGPRBlocks: 0
; VGPRBlocks: 0
; NumSGPRsForWavesPerEU: 30
; NumVGPRsForWavesPerEU: 12
; NamedBarCnt: 0
; Occupancy: 16
; WaveLimiterHint : 1
; COMPUTE_PGM_RSRC2:SCRATCH_EN: 0
; COMPUTE_PGM_RSRC2:USER_SGPR: 2
; COMPUTE_PGM_RSRC2:TRAP_HANDLER: 0
; COMPUTE_PGM_RSRC2:TGID_X_EN: 1
; COMPUTE_PGM_RSRC2:TGID_Y_EN: 0
; COMPUTE_PGM_RSRC2:TGID_Z_EN: 0
; COMPUTE_PGM_RSRC2:TIDIG_COMP_CNT: 0
	.section	.text._ZN2at6native12_GLOBAL__N_130MultiMarginLoss_forward_kernelILi2EdEEvPT0_PKS3_PKlS6_iibS3_,"axG",@progbits,_ZN2at6native12_GLOBAL__N_130MultiMarginLoss_forward_kernelILi2EdEEvPT0_PKS3_PKlS6_iibS3_,comdat
	.globl	_ZN2at6native12_GLOBAL__N_130MultiMarginLoss_forward_kernelILi2EdEEvPT0_PKS3_PKlS6_iibS3_ ; -- Begin function _ZN2at6native12_GLOBAL__N_130MultiMarginLoss_forward_kernelILi2EdEEvPT0_PKS3_PKlS6_iibS3_
	.p2align	8
	.type	_ZN2at6native12_GLOBAL__N_130MultiMarginLoss_forward_kernelILi2EdEEvPT0_PKS3_PKlS6_iibS3_,@function
_ZN2at6native12_GLOBAL__N_130MultiMarginLoss_forward_kernelILi2EdEEvPT0_PKS3_PKlS6_iibS3_: ; @_ZN2at6native12_GLOBAL__N_130MultiMarginLoss_forward_kernelILi2EdEEvPT0_PKS3_PKlS6_iibS3_
; %bb.0:
	s_load_b256 s[4:11], s[0:1], 0x0
	s_bfe_u32 s2, ttmp6, 0x4000c
	s_and_b32 s3, ttmp6, 15
	s_add_co_i32 s2, s2, 1
	s_getreg_b32 s12, hwreg(HW_REG_IB_STS2, 6, 4)
	s_mul_i32 s2, ttmp9, s2
	s_delay_alu instid0(SALU_CYCLE_1) | instskip(SKIP_2) | instid1(SALU_CYCLE_1)
	s_add_co_i32 s3, s3, s2
	s_cmp_eq_u32 s12, 0
	s_cselect_b32 s16, ttmp9, s3
	s_ashr_i32 s17, s16, 31
	s_delay_alu instid0(SALU_CYCLE_1)
	s_lshl_b64 s[2:3], s[16:17], 3
	s_wait_kmcnt 0x0
	s_add_nc_u64 s[8:9], s[8:9], s[2:3]
	s_load_b64 s[8:9], s[8:9], 0x0
	s_wait_kmcnt 0x0
	s_cmp_lt_i32 s8, 0
	s_cbranch_scc1 .LBB1_22
; %bb.1:
	s_load_b96 s[12:14], s[0:1], 0x20
	s_get_pc_i64 s[18:19]
	s_add_nc_u64 s[18:19], s[18:19], .str@rel64+4
	s_wait_kmcnt 0x0
	s_cmp_le_i32 s13, s8
	s_cselect_b32 s15, -1, 0
	s_cmp_eq_u64 s[18:19], 0
	s_cselect_b32 s17, -1, 0
	s_delay_alu instid0(SALU_CYCLE_1) | instskip(NEXT) | instid1(SALU_CYCLE_1)
	s_or_b32 s15, s15, s17
	s_and_not1_b32 vcc_lo, exec_lo, s15
	s_cbranch_vccz .LBB1_20
; %bb.2:
	s_load_b32 s17, s[0:1], 0x44
	v_mov_b64_e32 v[2:3], 0
	v_lshlrev_b32_e32 v4, 3, v0
	s_mov_b32 s18, exec_lo
	ds_store_b64 v4, v[2:3]
	s_wait_kmcnt 0x0
	s_and_b32 s17, s17, 0xffff
	v_cmpx_gt_u32_e64 s13, v0
	s_cbranch_execz .LBB1_9
; %bb.3:
	s_mul_i32 s20, s13, s16
	s_lshl_b64 s[22:23], s[8:9], 3
	s_ashr_i32 s21, s20, 31
	s_and_b64 s[22:23], s[22:23], 0x3fffffff8
	s_lshl_b64 s[20:21], s[20:21], 3
	v_dual_mov_b32 v5, 0 :: v_dual_mov_b32 v1, v0
	s_add_nc_u64 s[20:21], s[6:7], s[20:21]
	s_cmp_lg_u64 s[10:11], 0
	s_add_nc_u64 s[6:7], s[20:21], s[22:23]
	s_load_b64 s[24:25], s[6:7], 0x0
	s_load_b64 s[26:27], s[0:1], 0x30
	v_add_nc_u64_e32 v[8:9], s[20:21], v[4:5]
	s_wait_xcnt 0x0
	s_add_nc_u64 s[6:7], s[10:11], s[22:23]
	s_mov_b32 s11, 0
	s_cselect_b32 s1, -1, 0
	s_lshl_b32 s10, s17, 3
	s_mov_b32 s9, s11
	s_wait_kmcnt 0x0
	v_add_f64_e64 v[6:7], s[26:27], -s[24:25]
	s_branch .LBB1_6
.LBB1_4:                                ;   in Loop: Header=BB1_6 Depth=1
	s_delay_alu instid0(VALU_DEP_1)
	v_add_f64_e32 v[2:3], v[10:11], v[2:3]
	ds_store_b64 v4, v[2:3]
.LBB1_5:                                ;   in Loop: Header=BB1_6 Depth=1
	s_or_b32 exec_lo, exec_lo, s0
	v_add_nc_u32_e32 v1, s17, v1
	v_add_nc_u64_e32 v[8:9], s[10:11], v[8:9]
	s_delay_alu instid0(VALU_DEP_2) | instskip(SKIP_1) | instid1(SALU_CYCLE_1)
	v_cmp_le_i32_e32 vcc_lo, s13, v1
	s_or_b32 s9, vcc_lo, s9
	s_and_not1_b32 exec_lo, exec_lo, s9
	s_cbranch_execz .LBB1_9
.LBB1_6:                                ; =>This Inner Loop Header: Depth=1
	global_load_b64 v[10:11], v[8:9], off
	v_cmp_ne_u32_e64 s0, s8, v1
	s_wait_loadcnt 0x0
	v_add_f64_e32 v[10:11], v[6:7], v[10:11]
	s_delay_alu instid0(VALU_DEP_1) | instskip(SKIP_1) | instid1(SALU_CYCLE_1)
	v_cmp_lt_f64_e32 vcc_lo, 0, v[10:11]
	s_and_b32 s16, s0, vcc_lo
	s_and_saveexec_b32 s0, s16
	s_cbranch_execz .LBB1_5
; %bb.7:                                ;   in Loop: Header=BB1_6 Depth=1
	v_mul_f64_e32 v[10:11], v[10:11], v[10:11]
	s_and_not1_b32 vcc_lo, exec_lo, s1
	s_cbranch_vccnz .LBB1_4
; %bb.8:                                ;   in Loop: Header=BB1_6 Depth=1
	s_load_b64 s[20:21], s[6:7], 0x0
	s_wait_kmcnt 0x0
	s_delay_alu instid0(VALU_DEP_1)
	v_mul_f64_e32 v[10:11], s[20:21], v[10:11]
	s_branch .LBB1_4
.LBB1_9:
	s_or_b32 exec_lo, exec_lo, s18
	s_delay_alu instid0(SALU_CYCLE_1)
	s_mov_b32 s0, exec_lo
	s_wait_dscnt 0x0
	s_barrier_signal -1
	s_barrier_wait -1
	v_cmpx_eq_u32_e32 0, v0
	s_cbranch_execz .LBB1_19
; %bb.10:
	v_mov_b64_e32 v[0:1], 0
	s_cmp_eq_u32 s17, 0
	s_cbranch_scc1 .LBB1_18
; %bb.11:
	s_cmp_lt_u32 s17, 8
	s_cbranch_scc1 .LBB1_15
; %bb.12:
	s_and_b32 s1, s17, 0xfff8
	s_mov_b32 s6, 0
	s_mov_b32 s7, 0
.LBB1_13:                               ; =>This Inner Loop Header: Depth=1
	v_mov_b32_e32 v10, s6
	s_add_co_i32 s7, s7, 8
	s_add_co_i32 s6, s6, 64
	s_cmp_eq_u32 s1, s7
	ds_load_b128 v[2:5], v10
	ds_load_b128 v[6:9], v10 offset:16
	s_wait_dscnt 0x1
	v_add_f64_e32 v[0:1], v[0:1], v[2:3]
	s_delay_alu instid0(VALU_DEP_1) | instskip(SKIP_1) | instid1(VALU_DEP_1)
	v_add_f64_e32 v[0:1], v[0:1], v[4:5]
	s_wait_dscnt 0x0
	v_add_f64_e32 v[0:1], v[0:1], v[6:7]
	s_delay_alu instid0(VALU_DEP_1) | instskip(SKIP_4) | instid1(VALU_DEP_1)
	v_add_f64_e32 v[8:9], v[0:1], v[8:9]
	ds_load_b128 v[0:3], v10 offset:32
	ds_load_b128 v[4:7], v10 offset:48
	s_wait_dscnt 0x1
	v_add_f64_e32 v[0:1], v[8:9], v[0:1]
	v_add_f64_e32 v[0:1], v[0:1], v[2:3]
	s_wait_dscnt 0x0
	s_delay_alu instid0(VALU_DEP_1) | instskip(NEXT) | instid1(VALU_DEP_1)
	v_add_f64_e32 v[0:1], v[0:1], v[4:5]
	v_add_f64_e32 v[0:1], v[0:1], v[6:7]
	s_cbranch_scc0 .LBB1_13
; %bb.14:
	s_and_b32 s6, s17, 7
	s_delay_alu instid0(SALU_CYCLE_1)
	s_cmp_eq_u32 s6, 0
	s_cbranch_scc0 .LBB1_16
	s_branch .LBB1_18
.LBB1_15:
	s_mov_b32 s1, 0
	s_and_b32 s6, s17, 7
	s_delay_alu instid0(SALU_CYCLE_1)
	s_cmp_eq_u32 s6, 0
	s_cbranch_scc1 .LBB1_18
.LBB1_16:
	s_lshl_b32 s1, s1, 3
.LBB1_17:                               ; =>This Inner Loop Header: Depth=1
	s_delay_alu instid0(SALU_CYCLE_1)
	v_mov_b32_e32 v2, s1
	s_add_co_i32 s6, s6, -1
	s_add_co_i32 s1, s1, 8
	s_cmp_lg_u32 s6, 0
	ds_load_b64 v[2:3], v2
	s_wait_dscnt 0x0
	v_add_f64_e32 v[0:1], v[0:1], v[2:3]
	s_cbranch_scc1 .LBB1_17
.LBB1_18:
	s_and_b32 s1, 1, s14
	s_add_nc_u64 s[2:3], s[4:5], s[2:3]
	s_cmp_eq_u32 s1, 1
	s_cselect_b32 s1, s12, 1
	s_delay_alu instid0(SALU_CYCLE_1) | instskip(NEXT) | instid1(SALU_CYCLE_1)
	s_mul_i32 s1, s1, s13
	v_cvt_f64_i32_e32 v[2:3], s1
	s_delay_alu instid0(VALU_DEP_1) | instskip(NEXT) | instid1(VALU_DEP_1)
	v_div_scale_f64 v[4:5], null, v[2:3], v[2:3], v[0:1]
	v_rcp_f64_e32 v[6:7], v[4:5]
	v_nop
	s_delay_alu instid0(TRANS32_DEP_1) | instskip(NEXT) | instid1(VALU_DEP_1)
	v_fma_f64 v[8:9], -v[4:5], v[6:7], 1.0
	v_fmac_f64_e32 v[6:7], v[6:7], v[8:9]
	s_delay_alu instid0(VALU_DEP_1) | instskip(NEXT) | instid1(VALU_DEP_1)
	v_fma_f64 v[8:9], -v[4:5], v[6:7], 1.0
	v_fmac_f64_e32 v[6:7], v[6:7], v[8:9]
	v_div_scale_f64 v[8:9], vcc_lo, v[0:1], v[2:3], v[0:1]
	s_delay_alu instid0(VALU_DEP_1) | instskip(NEXT) | instid1(VALU_DEP_1)
	v_mul_f64_e32 v[10:11], v[8:9], v[6:7]
	v_fma_f64 v[4:5], -v[4:5], v[10:11], v[8:9]
	s_delay_alu instid0(VALU_DEP_1) | instskip(NEXT) | instid1(VALU_DEP_1)
	v_div_fmas_f64 v[4:5], v[4:5], v[6:7], v[10:11]
	v_div_fixup_f64 v[0:1], v[4:5], v[2:3], v[0:1]
	v_mov_b32_e32 v2, 0
	global_store_b64 v2, v[0:1], s[2:3]
.LBB1_19:
	s_wait_xcnt 0x0
	s_or_b32 exec_lo, exec_lo, s0
.LBB1_20:
	s_delay_alu instid0(SALU_CYCLE_1)
	s_and_b32 vcc_lo, exec_lo, s15
	s_cbranch_vccnz .LBB1_23
.LBB1_21:
	s_endpgm
.LBB1_22:
	s_cbranch_execz .LBB1_21
.LBB1_23:
	s_trap 2
	; divergent unreachable
	s_endpgm
	.section	.rodata,"a",@progbits
	.p2align	6, 0x0
	.amdhsa_kernel _ZN2at6native12_GLOBAL__N_130MultiMarginLoss_forward_kernelILi2EdEEvPT0_PKS3_PKlS6_iibS3_
		.amdhsa_group_segment_fixed_size 1024
		.amdhsa_private_segment_fixed_size 0
		.amdhsa_kernarg_size 312
		.amdhsa_user_sgpr_count 2
		.amdhsa_user_sgpr_dispatch_ptr 0
		.amdhsa_user_sgpr_queue_ptr 0
		.amdhsa_user_sgpr_kernarg_segment_ptr 1
		.amdhsa_user_sgpr_dispatch_id 0
		.amdhsa_user_sgpr_kernarg_preload_length 0
		.amdhsa_user_sgpr_kernarg_preload_offset 0
		.amdhsa_user_sgpr_private_segment_size 0
		.amdhsa_wavefront_size32 1
		.amdhsa_uses_dynamic_stack 0
		.amdhsa_enable_private_segment 0
		.amdhsa_system_sgpr_workgroup_id_x 1
		.amdhsa_system_sgpr_workgroup_id_y 0
		.amdhsa_system_sgpr_workgroup_id_z 0
		.amdhsa_system_sgpr_workgroup_info 0
		.amdhsa_system_vgpr_workitem_id 0
		.amdhsa_next_free_vgpr 12
		.amdhsa_next_free_sgpr 28
		.amdhsa_named_barrier_count 0
		.amdhsa_reserve_vcc 1
		.amdhsa_float_round_mode_32 0
		.amdhsa_float_round_mode_16_64 0
		.amdhsa_float_denorm_mode_32 3
		.amdhsa_float_denorm_mode_16_64 3
		.amdhsa_fp16_overflow 0
		.amdhsa_memory_ordered 1
		.amdhsa_forward_progress 1
		.amdhsa_inst_pref_size 7
		.amdhsa_round_robin_scheduling 0
		.amdhsa_exception_fp_ieee_invalid_op 0
		.amdhsa_exception_fp_denorm_src 0
		.amdhsa_exception_fp_ieee_div_zero 0
		.amdhsa_exception_fp_ieee_overflow 0
		.amdhsa_exception_fp_ieee_underflow 0
		.amdhsa_exception_fp_ieee_inexact 0
		.amdhsa_exception_int_div_zero 0
	.end_amdhsa_kernel
	.section	.text._ZN2at6native12_GLOBAL__N_130MultiMarginLoss_forward_kernelILi2EdEEvPT0_PKS3_PKlS6_iibS3_,"axG",@progbits,_ZN2at6native12_GLOBAL__N_130MultiMarginLoss_forward_kernelILi2EdEEvPT0_PKS3_PKlS6_iibS3_,comdat
.Lfunc_end1:
	.size	_ZN2at6native12_GLOBAL__N_130MultiMarginLoss_forward_kernelILi2EdEEvPT0_PKS3_PKlS6_iibS3_, .Lfunc_end1-_ZN2at6native12_GLOBAL__N_130MultiMarginLoss_forward_kernelILi2EdEEvPT0_PKS3_PKlS6_iibS3_
                                        ; -- End function
	.set _ZN2at6native12_GLOBAL__N_130MultiMarginLoss_forward_kernelILi2EdEEvPT0_PKS3_PKlS6_iibS3_.num_vgpr, 12
	.set _ZN2at6native12_GLOBAL__N_130MultiMarginLoss_forward_kernelILi2EdEEvPT0_PKS3_PKlS6_iibS3_.num_agpr, 0
	.set _ZN2at6native12_GLOBAL__N_130MultiMarginLoss_forward_kernelILi2EdEEvPT0_PKS3_PKlS6_iibS3_.numbered_sgpr, 28
	.set _ZN2at6native12_GLOBAL__N_130MultiMarginLoss_forward_kernelILi2EdEEvPT0_PKS3_PKlS6_iibS3_.num_named_barrier, 0
	.set _ZN2at6native12_GLOBAL__N_130MultiMarginLoss_forward_kernelILi2EdEEvPT0_PKS3_PKlS6_iibS3_.private_seg_size, 0
	.set _ZN2at6native12_GLOBAL__N_130MultiMarginLoss_forward_kernelILi2EdEEvPT0_PKS3_PKlS6_iibS3_.uses_vcc, 1
	.set _ZN2at6native12_GLOBAL__N_130MultiMarginLoss_forward_kernelILi2EdEEvPT0_PKS3_PKlS6_iibS3_.uses_flat_scratch, 0
	.set _ZN2at6native12_GLOBAL__N_130MultiMarginLoss_forward_kernelILi2EdEEvPT0_PKS3_PKlS6_iibS3_.has_dyn_sized_stack, 0
	.set _ZN2at6native12_GLOBAL__N_130MultiMarginLoss_forward_kernelILi2EdEEvPT0_PKS3_PKlS6_iibS3_.has_recursion, 0
	.set _ZN2at6native12_GLOBAL__N_130MultiMarginLoss_forward_kernelILi2EdEEvPT0_PKS3_PKlS6_iibS3_.has_indirect_call, 0
	.section	.AMDGPU.csdata,"",@progbits
; Kernel info:
; codeLenInByte = 884
; TotalNumSgprs: 30
; NumVgprs: 12
; ScratchSize: 0
; MemoryBound: 1
; FloatMode: 240
; IeeeMode: 1
; LDSByteSize: 1024 bytes/workgroup (compile time only)
; SGPRBlocks: 0
; VGPRBlocks: 0
; NumSGPRsForWavesPerEU: 30
; NumVGPRsForWavesPerEU: 12
; NamedBarCnt: 0
; Occupancy: 16
; WaveLimiterHint : 1
; COMPUTE_PGM_RSRC2:SCRATCH_EN: 0
; COMPUTE_PGM_RSRC2:USER_SGPR: 2
; COMPUTE_PGM_RSRC2:TRAP_HANDLER: 0
; COMPUTE_PGM_RSRC2:TGID_X_EN: 1
; COMPUTE_PGM_RSRC2:TGID_Y_EN: 0
; COMPUTE_PGM_RSRC2:TGID_Z_EN: 0
; COMPUTE_PGM_RSRC2:TIDIG_COMP_CNT: 0
	.section	.text._ZN2at6native12_GLOBAL__N_130MultiMarginLoss_forward_kernelILi1EfEEvPT0_PKS3_PKlS6_iibS3_,"axG",@progbits,_ZN2at6native12_GLOBAL__N_130MultiMarginLoss_forward_kernelILi1EfEEvPT0_PKS3_PKlS6_iibS3_,comdat
	.globl	_ZN2at6native12_GLOBAL__N_130MultiMarginLoss_forward_kernelILi1EfEEvPT0_PKS3_PKlS6_iibS3_ ; -- Begin function _ZN2at6native12_GLOBAL__N_130MultiMarginLoss_forward_kernelILi1EfEEvPT0_PKS3_PKlS6_iibS3_
	.p2align	8
	.type	_ZN2at6native12_GLOBAL__N_130MultiMarginLoss_forward_kernelILi1EfEEvPT0_PKS3_PKlS6_iibS3_,@function
_ZN2at6native12_GLOBAL__N_130MultiMarginLoss_forward_kernelILi1EfEEvPT0_PKS3_PKlS6_iibS3_: ; @_ZN2at6native12_GLOBAL__N_130MultiMarginLoss_forward_kernelILi1EfEEvPT0_PKS3_PKlS6_iibS3_
; %bb.0:
	s_load_b256 s[4:11], s[0:1], 0x0
	s_bfe_u32 s2, ttmp6, 0x4000c
	s_and_b32 s3, ttmp6, 15
	s_add_co_i32 s2, s2, 1
	s_getreg_b32 s12, hwreg(HW_REG_IB_STS2, 6, 4)
	s_mul_i32 s2, ttmp9, s2
	s_delay_alu instid0(SALU_CYCLE_1) | instskip(SKIP_2) | instid1(SALU_CYCLE_1)
	s_add_co_i32 s3, s3, s2
	s_cmp_eq_u32 s12, 0
	s_cselect_b32 s2, ttmp9, s3
	s_ashr_i32 s3, s2, 31
	s_delay_alu instid0(SALU_CYCLE_1)
	s_lshl_b64 s[12:13], s[2:3], 3
	s_wait_kmcnt 0x0
	s_add_nc_u64 s[8:9], s[8:9], s[12:13]
	s_load_b64 s[8:9], s[8:9], 0x0
	s_wait_kmcnt 0x0
	s_cmp_lt_i32 s8, 0
	s_cbranch_scc1 .LBB2_22
; %bb.1:
	s_load_b128 s[12:15], s[0:1], 0x20
	s_get_pc_i64 s[16:17]
	s_add_nc_u64 s[16:17], s[16:17], .str@rel64+4
	s_wait_kmcnt 0x0
	s_cmp_le_i32 s13, s8
	s_cselect_b32 s18, -1, 0
	s_cmp_eq_u64 s[16:17], 0
	s_cselect_b32 s16, -1, 0
	s_delay_alu instid0(SALU_CYCLE_1) | instskip(NEXT) | instid1(SALU_CYCLE_1)
	s_or_b32 s16, s18, s16
	s_and_not1_b32 vcc_lo, exec_lo, s16
	s_cbranch_vccz .LBB2_20
; %bb.2:
	s_load_b32 s0, s[0:1], 0x3c
	v_dual_mov_b32 v3, 0 :: v_dual_lshlrev_b32 v2, 2, v0
	s_mov_b32 s17, exec_lo
	ds_store_b32 v2, v3
	s_wait_kmcnt 0x0
	s_and_b32 s1, s0, 0xffff
	v_cmpx_gt_u32_e64 s13, v0
	s_cbranch_execz .LBB2_9
; %bb.3:
	s_mul_i32 s18, s13, s2
	s_lshl_b64 s[20:21], s[8:9], 2
	s_ashr_i32 s19, s18, 31
	s_and_b64 s[20:21], s[20:21], 0x1fffffffc
	s_lshl_b64 s[18:19], s[18:19], 2
	v_mov_b32_e32 v1, v0
	s_add_nc_u64 s[18:19], s[6:7], s[18:19]
	s_cmp_lg_u64 s[10:11], 0
	s_add_nc_u64 s[6:7], s[18:19], s[20:21]
	v_add_nc_u64_e32 v[4:5], s[18:19], v[2:3]
	s_load_b32 s0, s[6:7], 0x0
	s_wait_xcnt 0x0
	s_add_nc_u64 s[6:7], s[10:11], s[20:21]
	s_mov_b32 s11, 0
	s_cselect_b32 s9, -1, 0
	s_lshl_b32 s10, s1, 2
	s_mov_b32 s18, s11
	s_wait_kmcnt 0x0
	s_sub_f32 s15, s15, s0
	s_branch .LBB2_6
.LBB2_4:                                ;   in Loop: Header=BB2_6 Depth=1
	s_delay_alu instid0(VALU_DEP_1)
	v_add_f32_e32 v3, v6, v3
	ds_store_b32 v2, v3
.LBB2_5:                                ;   in Loop: Header=BB2_6 Depth=1
	s_or_b32 exec_lo, exec_lo, s0
	v_add_nc_u32_e32 v1, s1, v1
	v_add_nc_u64_e32 v[4:5], s[10:11], v[4:5]
	s_delay_alu instid0(VALU_DEP_2) | instskip(SKIP_1) | instid1(SALU_CYCLE_1)
	v_cmp_le_i32_e32 vcc_lo, s13, v1
	s_or_b32 s18, vcc_lo, s18
	s_and_not1_b32 exec_lo, exec_lo, s18
	s_cbranch_execz .LBB2_9
.LBB2_6:                                ; =>This Inner Loop Header: Depth=1
	global_load_b32 v6, v[4:5], off
	v_cmp_ne_u32_e32 vcc_lo, s8, v1
	s_wait_loadcnt 0x0
	v_add_f32_e32 v6, s15, v6
	s_delay_alu instid0(VALU_DEP_1) | instskip(SKIP_1) | instid1(SALU_CYCLE_1)
	v_cmp_lt_f32_e64 s0, 0, v6
	s_and_b32 s19, vcc_lo, s0
	s_and_saveexec_b32 s0, s19
	s_cbranch_execz .LBB2_5
; %bb.7:                                ;   in Loop: Header=BB2_6 Depth=1
	s_and_not1_b32 vcc_lo, exec_lo, s9
	s_cbranch_vccnz .LBB2_4
; %bb.8:                                ;   in Loop: Header=BB2_6 Depth=1
	s_load_b32 s19, s[6:7], 0x0
	s_wait_kmcnt 0x0
	v_mul_f32_e32 v6, s19, v6
	s_branch .LBB2_4
.LBB2_9:
	s_or_b32 exec_lo, exec_lo, s17
	s_delay_alu instid0(SALU_CYCLE_1)
	s_mov_b32 s0, exec_lo
	s_wait_dscnt 0x0
	s_barrier_signal -1
	s_barrier_wait -1
	v_cmpx_eq_u32_e32 0, v0
	s_cbranch_execz .LBB2_19
; %bb.10:
	v_mov_b32_e32 v0, 0
	s_cmp_eq_u32 s1, 0
	s_cbranch_scc1 .LBB2_18
; %bb.11:
	s_cmp_lt_u32 s1, 8
	s_cbranch_scc1 .LBB2_15
; %bb.12:
	s_and_b32 s6, s1, 0xfff8
	s_mov_b32 s7, 0
	s_mov_b32 s8, 0
.LBB2_13:                               ; =>This Inner Loop Header: Depth=1
	v_mov_b32_e32 v1, s7
	s_add_co_i32 s8, s8, 8
	s_add_co_i32 s7, s7, 32
	s_cmp_eq_u32 s6, s8
	ds_load_b128 v[2:5], v1
	ds_load_b128 v[6:9], v1 offset:16
	s_wait_dscnt 0x1
	v_add_f32_e32 v0, v0, v2
	s_delay_alu instid0(VALU_DEP_1) | instskip(NEXT) | instid1(VALU_DEP_1)
	v_add_f32_e32 v0, v0, v3
	v_add_f32_e32 v0, v0, v4
	s_delay_alu instid0(VALU_DEP_1) | instskip(SKIP_1) | instid1(VALU_DEP_1)
	v_add_f32_e32 v0, v0, v5
	s_wait_dscnt 0x0
	v_add_f32_e32 v0, v0, v6
	s_delay_alu instid0(VALU_DEP_1) | instskip(NEXT) | instid1(VALU_DEP_1)
	v_add_f32_e32 v0, v0, v7
	v_add_f32_e32 v0, v0, v8
	s_delay_alu instid0(VALU_DEP_1)
	v_add_f32_e32 v0, v0, v9
	s_cbranch_scc0 .LBB2_13
; %bb.14:
	s_and_b32 s1, s1, 7
	s_delay_alu instid0(SALU_CYCLE_1)
	s_cmp_eq_u32 s1, 0
	s_cbranch_scc0 .LBB2_16
	s_branch .LBB2_18
.LBB2_15:
	s_mov_b32 s6, 0
	s_and_b32 s1, s1, 7
	s_delay_alu instid0(SALU_CYCLE_1)
	s_cmp_eq_u32 s1, 0
	s_cbranch_scc1 .LBB2_18
.LBB2_16:
	s_lshl_b32 s6, s6, 2
.LBB2_17:                               ; =>This Inner Loop Header: Depth=1
	s_delay_alu instid0(SALU_CYCLE_1)
	v_mov_b32_e32 v1, s6
	s_add_co_i32 s1, s1, -1
	s_add_co_i32 s6, s6, 4
	s_cmp_lg_u32 s1, 0
	ds_load_b32 v1, v1
	s_wait_dscnt 0x0
	v_add_f32_e32 v0, v0, v1
	s_cbranch_scc1 .LBB2_17
.LBB2_18:
	s_and_b32 s1, 1, s14
	s_lshl_b64 s[2:3], s[2:3], 2
	s_cmp_eq_u32 s1, 1
	s_add_nc_u64 s[2:3], s[4:5], s[2:3]
	s_cselect_b32 s1, s12, 1
	s_delay_alu instid0(SALU_CYCLE_1) | instskip(NEXT) | instid1(SALU_CYCLE_1)
	s_mul_i32 s1, s1, s13
	s_cvt_f32_i32 s1, s1
	s_delay_alu instid0(SALU_CYCLE_3) | instskip(NEXT) | instid1(VALU_DEP_1)
	v_div_scale_f32 v1, null, s1, s1, v0
	v_rcp_f32_e32 v2, v1
	v_nop
	v_xor_b32_e32 v1, 0x80000000, v1
	s_delay_alu instid0(TRANS32_DEP_1) | instid1(VALU_DEP_1)
	v_fma_f32 v3, v1, v2, 1.0
	s_delay_alu instid0(VALU_DEP_1) | instskip(SKIP_1) | instid1(VALU_DEP_1)
	v_fmac_f32_e32 v2, v3, v2
	v_div_scale_f32 v3, vcc_lo, v0, s1, v0
	v_mul_f32_e32 v4, v3, v2
	s_delay_alu instid0(VALU_DEP_1) | instskip(NEXT) | instid1(VALU_DEP_1)
	v_fma_f32 v5, v1, v4, v3
	v_fmac_f32_e32 v4, v5, v2
	s_delay_alu instid0(VALU_DEP_1) | instskip(NEXT) | instid1(VALU_DEP_1)
	v_fmac_f32_e32 v3, v1, v4
	v_div_fmas_f32 v1, v3, v2, v4
	v_mov_b32_e32 v2, 0
	s_delay_alu instid0(VALU_DEP_2)
	v_div_fixup_f32 v0, v1, s1, v0
	global_store_b32 v2, v0, s[2:3]
.LBB2_19:
	s_wait_xcnt 0x0
	s_or_b32 exec_lo, exec_lo, s0
.LBB2_20:
	s_delay_alu instid0(SALU_CYCLE_1)
	s_and_b32 vcc_lo, exec_lo, s16
	s_cbranch_vccnz .LBB2_23
.LBB2_21:
	s_endpgm
.LBB2_22:
	s_cbranch_execz .LBB2_21
.LBB2_23:
	s_trap 2
	; divergent unreachable
	s_endpgm
	.section	.rodata,"a",@progbits
	.p2align	6, 0x0
	.amdhsa_kernel _ZN2at6native12_GLOBAL__N_130MultiMarginLoss_forward_kernelILi1EfEEvPT0_PKS3_PKlS6_iibS3_
		.amdhsa_group_segment_fixed_size 512
		.amdhsa_private_segment_fixed_size 0
		.amdhsa_kernarg_size 304
		.amdhsa_user_sgpr_count 2
		.amdhsa_user_sgpr_dispatch_ptr 0
		.amdhsa_user_sgpr_queue_ptr 0
		.amdhsa_user_sgpr_kernarg_segment_ptr 1
		.amdhsa_user_sgpr_dispatch_id 0
		.amdhsa_user_sgpr_kernarg_preload_length 0
		.amdhsa_user_sgpr_kernarg_preload_offset 0
		.amdhsa_user_sgpr_private_segment_size 0
		.amdhsa_wavefront_size32 1
		.amdhsa_uses_dynamic_stack 0
		.amdhsa_enable_private_segment 0
		.amdhsa_system_sgpr_workgroup_id_x 1
		.amdhsa_system_sgpr_workgroup_id_y 0
		.amdhsa_system_sgpr_workgroup_id_z 0
		.amdhsa_system_sgpr_workgroup_info 0
		.amdhsa_system_vgpr_workitem_id 0
		.amdhsa_next_free_vgpr 10
		.amdhsa_next_free_sgpr 22
		.amdhsa_named_barrier_count 0
		.amdhsa_reserve_vcc 1
		.amdhsa_float_round_mode_32 0
		.amdhsa_float_round_mode_16_64 0
		.amdhsa_float_denorm_mode_32 3
		.amdhsa_float_denorm_mode_16_64 3
		.amdhsa_fp16_overflow 0
		.amdhsa_memory_ordered 1
		.amdhsa_forward_progress 1
		.amdhsa_inst_pref_size 7
		.amdhsa_round_robin_scheduling 0
		.amdhsa_exception_fp_ieee_invalid_op 0
		.amdhsa_exception_fp_denorm_src 0
		.amdhsa_exception_fp_ieee_div_zero 0
		.amdhsa_exception_fp_ieee_overflow 0
		.amdhsa_exception_fp_ieee_underflow 0
		.amdhsa_exception_fp_ieee_inexact 0
		.amdhsa_exception_int_div_zero 0
	.end_amdhsa_kernel
	.section	.text._ZN2at6native12_GLOBAL__N_130MultiMarginLoss_forward_kernelILi1EfEEvPT0_PKS3_PKlS6_iibS3_,"axG",@progbits,_ZN2at6native12_GLOBAL__N_130MultiMarginLoss_forward_kernelILi1EfEEvPT0_PKS3_PKlS6_iibS3_,comdat
.Lfunc_end2:
	.size	_ZN2at6native12_GLOBAL__N_130MultiMarginLoss_forward_kernelILi1EfEEvPT0_PKS3_PKlS6_iibS3_, .Lfunc_end2-_ZN2at6native12_GLOBAL__N_130MultiMarginLoss_forward_kernelILi1EfEEvPT0_PKS3_PKlS6_iibS3_
                                        ; -- End function
	.set _ZN2at6native12_GLOBAL__N_130MultiMarginLoss_forward_kernelILi1EfEEvPT0_PKS3_PKlS6_iibS3_.num_vgpr, 10
	.set _ZN2at6native12_GLOBAL__N_130MultiMarginLoss_forward_kernelILi1EfEEvPT0_PKS3_PKlS6_iibS3_.num_agpr, 0
	.set _ZN2at6native12_GLOBAL__N_130MultiMarginLoss_forward_kernelILi1EfEEvPT0_PKS3_PKlS6_iibS3_.numbered_sgpr, 22
	.set _ZN2at6native12_GLOBAL__N_130MultiMarginLoss_forward_kernelILi1EfEEvPT0_PKS3_PKlS6_iibS3_.num_named_barrier, 0
	.set _ZN2at6native12_GLOBAL__N_130MultiMarginLoss_forward_kernelILi1EfEEvPT0_PKS3_PKlS6_iibS3_.private_seg_size, 0
	.set _ZN2at6native12_GLOBAL__N_130MultiMarginLoss_forward_kernelILi1EfEEvPT0_PKS3_PKlS6_iibS3_.uses_vcc, 1
	.set _ZN2at6native12_GLOBAL__N_130MultiMarginLoss_forward_kernelILi1EfEEvPT0_PKS3_PKlS6_iibS3_.uses_flat_scratch, 0
	.set _ZN2at6native12_GLOBAL__N_130MultiMarginLoss_forward_kernelILi1EfEEvPT0_PKS3_PKlS6_iibS3_.has_dyn_sized_stack, 0
	.set _ZN2at6native12_GLOBAL__N_130MultiMarginLoss_forward_kernelILi1EfEEvPT0_PKS3_PKlS6_iibS3_.has_recursion, 0
	.set _ZN2at6native12_GLOBAL__N_130MultiMarginLoss_forward_kernelILi1EfEEvPT0_PKS3_PKlS6_iibS3_.has_indirect_call, 0
	.section	.AMDGPU.csdata,"",@progbits
; Kernel info:
; codeLenInByte = 848
; TotalNumSgprs: 24
; NumVgprs: 10
; ScratchSize: 0
; MemoryBound: 0
; FloatMode: 240
; IeeeMode: 1
; LDSByteSize: 512 bytes/workgroup (compile time only)
; SGPRBlocks: 0
; VGPRBlocks: 0
; NumSGPRsForWavesPerEU: 24
; NumVGPRsForWavesPerEU: 10
; NamedBarCnt: 0
; Occupancy: 16
; WaveLimiterHint : 1
; COMPUTE_PGM_RSRC2:SCRATCH_EN: 0
; COMPUTE_PGM_RSRC2:USER_SGPR: 2
; COMPUTE_PGM_RSRC2:TRAP_HANDLER: 0
; COMPUTE_PGM_RSRC2:TGID_X_EN: 1
; COMPUTE_PGM_RSRC2:TGID_Y_EN: 0
; COMPUTE_PGM_RSRC2:TGID_Z_EN: 0
; COMPUTE_PGM_RSRC2:TIDIG_COMP_CNT: 0
	.section	.text._ZN2at6native12_GLOBAL__N_130MultiMarginLoss_forward_kernelILi2EfEEvPT0_PKS3_PKlS6_iibS3_,"axG",@progbits,_ZN2at6native12_GLOBAL__N_130MultiMarginLoss_forward_kernelILi2EfEEvPT0_PKS3_PKlS6_iibS3_,comdat
	.globl	_ZN2at6native12_GLOBAL__N_130MultiMarginLoss_forward_kernelILi2EfEEvPT0_PKS3_PKlS6_iibS3_ ; -- Begin function _ZN2at6native12_GLOBAL__N_130MultiMarginLoss_forward_kernelILi2EfEEvPT0_PKS3_PKlS6_iibS3_
	.p2align	8
	.type	_ZN2at6native12_GLOBAL__N_130MultiMarginLoss_forward_kernelILi2EfEEvPT0_PKS3_PKlS6_iibS3_,@function
_ZN2at6native12_GLOBAL__N_130MultiMarginLoss_forward_kernelILi2EfEEvPT0_PKS3_PKlS6_iibS3_: ; @_ZN2at6native12_GLOBAL__N_130MultiMarginLoss_forward_kernelILi2EfEEvPT0_PKS3_PKlS6_iibS3_
; %bb.0:
	s_load_b256 s[4:11], s[0:1], 0x0
	s_bfe_u32 s2, ttmp6, 0x4000c
	s_and_b32 s3, ttmp6, 15
	s_add_co_i32 s2, s2, 1
	s_getreg_b32 s12, hwreg(HW_REG_IB_STS2, 6, 4)
	s_mul_i32 s2, ttmp9, s2
	s_delay_alu instid0(SALU_CYCLE_1) | instskip(SKIP_2) | instid1(SALU_CYCLE_1)
	s_add_co_i32 s3, s3, s2
	s_cmp_eq_u32 s12, 0
	s_cselect_b32 s2, ttmp9, s3
	s_ashr_i32 s3, s2, 31
	s_delay_alu instid0(SALU_CYCLE_1)
	s_lshl_b64 s[12:13], s[2:3], 3
	s_wait_kmcnt 0x0
	s_add_nc_u64 s[8:9], s[8:9], s[12:13]
	s_load_b64 s[8:9], s[8:9], 0x0
	s_wait_kmcnt 0x0
	s_cmp_lt_i32 s8, 0
	s_cbranch_scc1 .LBB3_22
; %bb.1:
	s_load_b128 s[12:15], s[0:1], 0x20
	s_get_pc_i64 s[16:17]
	s_add_nc_u64 s[16:17], s[16:17], .str@rel64+4
	s_wait_kmcnt 0x0
	s_cmp_le_i32 s13, s8
	s_cselect_b32 s18, -1, 0
	s_cmp_eq_u64 s[16:17], 0
	s_cselect_b32 s16, -1, 0
	s_delay_alu instid0(SALU_CYCLE_1) | instskip(NEXT) | instid1(SALU_CYCLE_1)
	s_or_b32 s16, s18, s16
	s_and_not1_b32 vcc_lo, exec_lo, s16
	s_cbranch_vccz .LBB3_20
; %bb.2:
	s_load_b32 s0, s[0:1], 0x3c
	v_dual_mov_b32 v3, 0 :: v_dual_lshlrev_b32 v2, 2, v0
	s_mov_b32 s17, exec_lo
	ds_store_b32 v2, v3
	s_wait_kmcnt 0x0
	s_and_b32 s1, s0, 0xffff
	v_cmpx_gt_u32_e64 s13, v0
	s_cbranch_execz .LBB3_9
; %bb.3:
	s_mul_i32 s18, s13, s2
	s_lshl_b64 s[20:21], s[8:9], 2
	s_ashr_i32 s19, s18, 31
	s_and_b64 s[20:21], s[20:21], 0x1fffffffc
	s_lshl_b64 s[18:19], s[18:19], 2
	v_mov_b32_e32 v1, v0
	s_add_nc_u64 s[18:19], s[6:7], s[18:19]
	s_cmp_lg_u64 s[10:11], 0
	s_add_nc_u64 s[6:7], s[18:19], s[20:21]
	v_add_nc_u64_e32 v[4:5], s[18:19], v[2:3]
	s_load_b32 s0, s[6:7], 0x0
	s_wait_xcnt 0x0
	s_add_nc_u64 s[6:7], s[10:11], s[20:21]
	s_mov_b32 s11, 0
	s_cselect_b32 s9, -1, 0
	s_lshl_b32 s10, s1, 2
	s_mov_b32 s18, s11
	s_wait_kmcnt 0x0
	s_sub_f32 s15, s15, s0
	s_branch .LBB3_6
.LBB3_4:                                ;   in Loop: Header=BB3_6 Depth=1
	s_delay_alu instid0(VALU_DEP_1)
	v_add_f32_e32 v3, v6, v3
	ds_store_b32 v2, v3
.LBB3_5:                                ;   in Loop: Header=BB3_6 Depth=1
	s_or_b32 exec_lo, exec_lo, s0
	v_add_nc_u32_e32 v1, s1, v1
	v_add_nc_u64_e32 v[4:5], s[10:11], v[4:5]
	s_delay_alu instid0(VALU_DEP_2) | instskip(SKIP_1) | instid1(SALU_CYCLE_1)
	v_cmp_le_i32_e32 vcc_lo, s13, v1
	s_or_b32 s18, vcc_lo, s18
	s_and_not1_b32 exec_lo, exec_lo, s18
	s_cbranch_execz .LBB3_9
.LBB3_6:                                ; =>This Inner Loop Header: Depth=1
	global_load_b32 v6, v[4:5], off
	v_cmp_ne_u32_e32 vcc_lo, s8, v1
	s_wait_loadcnt 0x0
	v_add_f32_e32 v6, s15, v6
	s_delay_alu instid0(VALU_DEP_1) | instskip(SKIP_1) | instid1(SALU_CYCLE_1)
	v_cmp_lt_f32_e64 s0, 0, v6
	s_and_b32 s19, vcc_lo, s0
	s_and_saveexec_b32 s0, s19
	s_cbranch_execz .LBB3_5
; %bb.7:                                ;   in Loop: Header=BB3_6 Depth=1
	v_mul_f32_e32 v6, v6, v6
	s_and_not1_b32 vcc_lo, exec_lo, s9
	s_cbranch_vccnz .LBB3_4
; %bb.8:                                ;   in Loop: Header=BB3_6 Depth=1
	s_load_b32 s19, s[6:7], 0x0
	s_wait_kmcnt 0x0
	v_mul_f32_e32 v6, s19, v6
	s_branch .LBB3_4
.LBB3_9:
	s_or_b32 exec_lo, exec_lo, s17
	s_delay_alu instid0(SALU_CYCLE_1)
	s_mov_b32 s0, exec_lo
	s_wait_dscnt 0x0
	s_barrier_signal -1
	s_barrier_wait -1
	v_cmpx_eq_u32_e32 0, v0
	s_cbranch_execz .LBB3_19
; %bb.10:
	v_mov_b32_e32 v0, 0
	s_cmp_eq_u32 s1, 0
	s_cbranch_scc1 .LBB3_18
; %bb.11:
	s_cmp_lt_u32 s1, 8
	s_cbranch_scc1 .LBB3_15
; %bb.12:
	s_and_b32 s6, s1, 0xfff8
	s_mov_b32 s7, 0
	s_mov_b32 s8, 0
.LBB3_13:                               ; =>This Inner Loop Header: Depth=1
	v_mov_b32_e32 v1, s7
	s_add_co_i32 s8, s8, 8
	s_add_co_i32 s7, s7, 32
	s_cmp_eq_u32 s6, s8
	ds_load_b128 v[2:5], v1
	ds_load_b128 v[6:9], v1 offset:16
	s_wait_dscnt 0x1
	v_add_f32_e32 v0, v0, v2
	s_delay_alu instid0(VALU_DEP_1) | instskip(NEXT) | instid1(VALU_DEP_1)
	v_add_f32_e32 v0, v0, v3
	v_add_f32_e32 v0, v0, v4
	s_delay_alu instid0(VALU_DEP_1) | instskip(SKIP_1) | instid1(VALU_DEP_1)
	v_add_f32_e32 v0, v0, v5
	s_wait_dscnt 0x0
	v_add_f32_e32 v0, v0, v6
	s_delay_alu instid0(VALU_DEP_1) | instskip(NEXT) | instid1(VALU_DEP_1)
	v_add_f32_e32 v0, v0, v7
	v_add_f32_e32 v0, v0, v8
	s_delay_alu instid0(VALU_DEP_1)
	v_add_f32_e32 v0, v0, v9
	s_cbranch_scc0 .LBB3_13
; %bb.14:
	s_and_b32 s1, s1, 7
	s_delay_alu instid0(SALU_CYCLE_1)
	s_cmp_eq_u32 s1, 0
	s_cbranch_scc0 .LBB3_16
	s_branch .LBB3_18
.LBB3_15:
	s_mov_b32 s6, 0
	s_and_b32 s1, s1, 7
	s_delay_alu instid0(SALU_CYCLE_1)
	s_cmp_eq_u32 s1, 0
	s_cbranch_scc1 .LBB3_18
.LBB3_16:
	s_lshl_b32 s6, s6, 2
.LBB3_17:                               ; =>This Inner Loop Header: Depth=1
	s_delay_alu instid0(SALU_CYCLE_1)
	v_mov_b32_e32 v1, s6
	s_add_co_i32 s1, s1, -1
	s_add_co_i32 s6, s6, 4
	s_cmp_lg_u32 s1, 0
	ds_load_b32 v1, v1
	s_wait_dscnt 0x0
	v_add_f32_e32 v0, v0, v1
	s_cbranch_scc1 .LBB3_17
.LBB3_18:
	s_and_b32 s1, 1, s14
	s_lshl_b64 s[2:3], s[2:3], 2
	s_cmp_eq_u32 s1, 1
	s_add_nc_u64 s[2:3], s[4:5], s[2:3]
	s_cselect_b32 s1, s12, 1
	s_delay_alu instid0(SALU_CYCLE_1) | instskip(NEXT) | instid1(SALU_CYCLE_1)
	s_mul_i32 s1, s1, s13
	s_cvt_f32_i32 s1, s1
	s_delay_alu instid0(SALU_CYCLE_3) | instskip(NEXT) | instid1(VALU_DEP_1)
	v_div_scale_f32 v1, null, s1, s1, v0
	v_rcp_f32_e32 v2, v1
	v_nop
	v_xor_b32_e32 v1, 0x80000000, v1
	s_delay_alu instid0(TRANS32_DEP_1) | instid1(VALU_DEP_1)
	v_fma_f32 v3, v1, v2, 1.0
	s_delay_alu instid0(VALU_DEP_1) | instskip(SKIP_1) | instid1(VALU_DEP_1)
	v_fmac_f32_e32 v2, v3, v2
	v_div_scale_f32 v3, vcc_lo, v0, s1, v0
	v_mul_f32_e32 v4, v3, v2
	s_delay_alu instid0(VALU_DEP_1) | instskip(NEXT) | instid1(VALU_DEP_1)
	v_fma_f32 v5, v1, v4, v3
	v_fmac_f32_e32 v4, v5, v2
	s_delay_alu instid0(VALU_DEP_1) | instskip(NEXT) | instid1(VALU_DEP_1)
	v_fmac_f32_e32 v3, v1, v4
	v_div_fmas_f32 v1, v3, v2, v4
	v_mov_b32_e32 v2, 0
	s_delay_alu instid0(VALU_DEP_2)
	v_div_fixup_f32 v0, v1, s1, v0
	global_store_b32 v2, v0, s[2:3]
.LBB3_19:
	s_wait_xcnt 0x0
	s_or_b32 exec_lo, exec_lo, s0
.LBB3_20:
	s_delay_alu instid0(SALU_CYCLE_1)
	s_and_b32 vcc_lo, exec_lo, s16
	s_cbranch_vccnz .LBB3_23
.LBB3_21:
	s_endpgm
.LBB3_22:
	s_cbranch_execz .LBB3_21
.LBB3_23:
	s_trap 2
	; divergent unreachable
	s_endpgm
	.section	.rodata,"a",@progbits
	.p2align	6, 0x0
	.amdhsa_kernel _ZN2at6native12_GLOBAL__N_130MultiMarginLoss_forward_kernelILi2EfEEvPT0_PKS3_PKlS6_iibS3_
		.amdhsa_group_segment_fixed_size 512
		.amdhsa_private_segment_fixed_size 0
		.amdhsa_kernarg_size 304
		.amdhsa_user_sgpr_count 2
		.amdhsa_user_sgpr_dispatch_ptr 0
		.amdhsa_user_sgpr_queue_ptr 0
		.amdhsa_user_sgpr_kernarg_segment_ptr 1
		.amdhsa_user_sgpr_dispatch_id 0
		.amdhsa_user_sgpr_kernarg_preload_length 0
		.amdhsa_user_sgpr_kernarg_preload_offset 0
		.amdhsa_user_sgpr_private_segment_size 0
		.amdhsa_wavefront_size32 1
		.amdhsa_uses_dynamic_stack 0
		.amdhsa_enable_private_segment 0
		.amdhsa_system_sgpr_workgroup_id_x 1
		.amdhsa_system_sgpr_workgroup_id_y 0
		.amdhsa_system_sgpr_workgroup_id_z 0
		.amdhsa_system_sgpr_workgroup_info 0
		.amdhsa_system_vgpr_workitem_id 0
		.amdhsa_next_free_vgpr 10
		.amdhsa_next_free_sgpr 22
		.amdhsa_named_barrier_count 0
		.amdhsa_reserve_vcc 1
		.amdhsa_float_round_mode_32 0
		.amdhsa_float_round_mode_16_64 0
		.amdhsa_float_denorm_mode_32 3
		.amdhsa_float_denorm_mode_16_64 3
		.amdhsa_fp16_overflow 0
		.amdhsa_memory_ordered 1
		.amdhsa_forward_progress 1
		.amdhsa_inst_pref_size 7
		.amdhsa_round_robin_scheduling 0
		.amdhsa_exception_fp_ieee_invalid_op 0
		.amdhsa_exception_fp_denorm_src 0
		.amdhsa_exception_fp_ieee_div_zero 0
		.amdhsa_exception_fp_ieee_overflow 0
		.amdhsa_exception_fp_ieee_underflow 0
		.amdhsa_exception_fp_ieee_inexact 0
		.amdhsa_exception_int_div_zero 0
	.end_amdhsa_kernel
	.section	.text._ZN2at6native12_GLOBAL__N_130MultiMarginLoss_forward_kernelILi2EfEEvPT0_PKS3_PKlS6_iibS3_,"axG",@progbits,_ZN2at6native12_GLOBAL__N_130MultiMarginLoss_forward_kernelILi2EfEEvPT0_PKS3_PKlS6_iibS3_,comdat
.Lfunc_end3:
	.size	_ZN2at6native12_GLOBAL__N_130MultiMarginLoss_forward_kernelILi2EfEEvPT0_PKS3_PKlS6_iibS3_, .Lfunc_end3-_ZN2at6native12_GLOBAL__N_130MultiMarginLoss_forward_kernelILi2EfEEvPT0_PKS3_PKlS6_iibS3_
                                        ; -- End function
	.set _ZN2at6native12_GLOBAL__N_130MultiMarginLoss_forward_kernelILi2EfEEvPT0_PKS3_PKlS6_iibS3_.num_vgpr, 10
	.set _ZN2at6native12_GLOBAL__N_130MultiMarginLoss_forward_kernelILi2EfEEvPT0_PKS3_PKlS6_iibS3_.num_agpr, 0
	.set _ZN2at6native12_GLOBAL__N_130MultiMarginLoss_forward_kernelILi2EfEEvPT0_PKS3_PKlS6_iibS3_.numbered_sgpr, 22
	.set _ZN2at6native12_GLOBAL__N_130MultiMarginLoss_forward_kernelILi2EfEEvPT0_PKS3_PKlS6_iibS3_.num_named_barrier, 0
	.set _ZN2at6native12_GLOBAL__N_130MultiMarginLoss_forward_kernelILi2EfEEvPT0_PKS3_PKlS6_iibS3_.private_seg_size, 0
	.set _ZN2at6native12_GLOBAL__N_130MultiMarginLoss_forward_kernelILi2EfEEvPT0_PKS3_PKlS6_iibS3_.uses_vcc, 1
	.set _ZN2at6native12_GLOBAL__N_130MultiMarginLoss_forward_kernelILi2EfEEvPT0_PKS3_PKlS6_iibS3_.uses_flat_scratch, 0
	.set _ZN2at6native12_GLOBAL__N_130MultiMarginLoss_forward_kernelILi2EfEEvPT0_PKS3_PKlS6_iibS3_.has_dyn_sized_stack, 0
	.set _ZN2at6native12_GLOBAL__N_130MultiMarginLoss_forward_kernelILi2EfEEvPT0_PKS3_PKlS6_iibS3_.has_recursion, 0
	.set _ZN2at6native12_GLOBAL__N_130MultiMarginLoss_forward_kernelILi2EfEEvPT0_PKS3_PKlS6_iibS3_.has_indirect_call, 0
	.section	.AMDGPU.csdata,"",@progbits
; Kernel info:
; codeLenInByte = 852
; TotalNumSgprs: 24
; NumVgprs: 10
; ScratchSize: 0
; MemoryBound: 0
; FloatMode: 240
; IeeeMode: 1
; LDSByteSize: 512 bytes/workgroup (compile time only)
; SGPRBlocks: 0
; VGPRBlocks: 0
; NumSGPRsForWavesPerEU: 24
; NumVGPRsForWavesPerEU: 10
; NamedBarCnt: 0
; Occupancy: 16
; WaveLimiterHint : 1
; COMPUTE_PGM_RSRC2:SCRATCH_EN: 0
; COMPUTE_PGM_RSRC2:USER_SGPR: 2
; COMPUTE_PGM_RSRC2:TRAP_HANDLER: 0
; COMPUTE_PGM_RSRC2:TGID_X_EN: 1
; COMPUTE_PGM_RSRC2:TGID_Y_EN: 0
; COMPUTE_PGM_RSRC2:TGID_Z_EN: 0
; COMPUTE_PGM_RSRC2:TIDIG_COMP_CNT: 0
	.section	.text._ZN2at6native12_GLOBAL__N_130MultiMarginLoss_forward_kernelILi1EN3c104HalfEEEvPT0_PKS5_PKlS8_iibS5_,"axG",@progbits,_ZN2at6native12_GLOBAL__N_130MultiMarginLoss_forward_kernelILi1EN3c104HalfEEEvPT0_PKS5_PKlS8_iibS5_,comdat
	.globl	_ZN2at6native12_GLOBAL__N_130MultiMarginLoss_forward_kernelILi1EN3c104HalfEEEvPT0_PKS5_PKlS8_iibS5_ ; -- Begin function _ZN2at6native12_GLOBAL__N_130MultiMarginLoss_forward_kernelILi1EN3c104HalfEEEvPT0_PKS5_PKlS8_iibS5_
	.p2align	8
	.type	_ZN2at6native12_GLOBAL__N_130MultiMarginLoss_forward_kernelILi1EN3c104HalfEEEvPT0_PKS5_PKlS8_iibS5_,@function
_ZN2at6native12_GLOBAL__N_130MultiMarginLoss_forward_kernelILi1EN3c104HalfEEEvPT0_PKS5_PKlS8_iibS5_: ; @_ZN2at6native12_GLOBAL__N_130MultiMarginLoss_forward_kernelILi1EN3c104HalfEEEvPT0_PKS5_PKlS8_iibS5_
; %bb.0:
	s_load_b256 s[4:11], s[0:1], 0x0
	s_bfe_u32 s2, ttmp6, 0x4000c
	s_and_b32 s3, ttmp6, 15
	s_add_co_i32 s2, s2, 1
	s_getreg_b32 s12, hwreg(HW_REG_IB_STS2, 6, 4)
	s_mul_i32 s2, ttmp9, s2
	s_delay_alu instid0(SALU_CYCLE_1) | instskip(SKIP_2) | instid1(SALU_CYCLE_1)
	s_add_co_i32 s3, s3, s2
	s_cmp_eq_u32 s12, 0
	s_cselect_b32 s2, ttmp9, s3
	s_ashr_i32 s3, s2, 31
	s_delay_alu instid0(SALU_CYCLE_1)
	s_lshl_b64 s[12:13], s[2:3], 3
	s_wait_kmcnt 0x0
	s_add_nc_u64 s[8:9], s[8:9], s[12:13]
	s_load_b64 s[8:9], s[8:9], 0x0
	s_wait_kmcnt 0x0
	s_cmp_lt_i32 s8, 0
	s_cbranch_scc1 .LBB4_22
; %bb.1:
	s_load_b96 s[12:14], s[0:1], 0x20
	s_get_pc_i64 s[16:17]
	s_add_nc_u64 s[16:17], s[16:17], .str@rel64+4
	s_wait_kmcnt 0x0
	s_cmp_le_i32 s13, s8
	s_cselect_b32 s9, -1, 0
	s_cmp_eq_u64 s[16:17], 0
	s_cselect_b32 s15, -1, 0
	s_delay_alu instid0(SALU_CYCLE_1) | instskip(NEXT) | instid1(SALU_CYCLE_1)
	s_or_b32 s9, s9, s15
	s_and_not1_b32 vcc_lo, exec_lo, s9
	s_cbranch_vccz .LBB4_20
; %bb.2:
	s_load_b32 s15, s[0:1], 0x3c
	v_dual_lshlrev_b32 v1, 2, v0 :: v_dual_mov_b32 v3, 0
	s_mov_b32 s16, exec_lo
	ds_store_b32 v1, v3
	s_wait_kmcnt 0x0
	s_and_b32 s15, s15, 0xffff
	v_cmpx_gt_u32_e64 s13, v0
	s_cbranch_execz .LBB4_9
; %bb.3:
	s_mul_i32 s18, s13, s2
	v_dual_mov_b32 v2, s8 :: v_dual_mov_b32 v6, 0
	s_ashr_i32 s19, s18, 31
	s_load_b32 s0, s[0:1], 0x28
	s_lshl_b64 s[18:19], s[18:19], 1
	s_delay_alu instid0(SALU_CYCLE_1)
	s_add_nc_u64 s[18:19], s[6:7], s[18:19]
	s_lshl_b32 s6, s8, 1
	global_load_u16 v7, v2, s[18:19] scale_offset
	s_wait_xcnt 0x0
	v_lshlrev_b32_e32 v2, 1, v0
	s_mov_b32 s7, 0
	s_delay_alu instid0(SALU_CYCLE_1) | instskip(NEXT) | instid1(VALU_DEP_1)
	s_mov_b32 s17, s7
	v_add_nc_u64_e32 v[4:5], s[18:19], v[2:3]
	s_wait_kmcnt 0x0
	s_lshr_b32 s0, s0, 16
	s_cmp_lg_u64 s[10:11], 0
	s_add_nc_u64 s[10:11], s[10:11], s[6:7]
	s_cselect_b32 s1, -1, 0
	s_lshl_b32 s6, s15, 1
	s_wait_loadcnt 0x0
	v_sub_f16_e32 v2, s0, v7
	v_mov_b32_e32 v7, v0
	s_branch .LBB4_6
.LBB4_4:                                ;   in Loop: Header=BB4_6 Depth=1
	s_delay_alu instid0(VALU_DEP_1) | instskip(NEXT) | instid1(VALU_DEP_1)
	v_cvt_f32_f16_e32 v8, v8
	v_add_f32_e32 v6, v6, v8
	ds_store_b32 v1, v6
.LBB4_5:                                ;   in Loop: Header=BB4_6 Depth=1
	s_or_b32 exec_lo, exec_lo, s0
	v_add_nc_u32_e32 v7, s15, v7
	v_add_nc_u64_e32 v[4:5], s[6:7], v[4:5]
	s_delay_alu instid0(VALU_DEP_2) | instskip(SKIP_1) | instid1(SALU_CYCLE_1)
	v_cmp_le_i32_e32 vcc_lo, s13, v7
	s_or_b32 s17, vcc_lo, s17
	s_and_not1_b32 exec_lo, exec_lo, s17
	s_cbranch_execz .LBB4_9
.LBB4_6:                                ; =>This Inner Loop Header: Depth=1
	global_load_u16 v8, v[4:5], off
	v_cmp_ne_u32_e32 vcc_lo, s8, v7
	s_wait_loadcnt 0x0
	v_add_f16_e32 v8, v2, v8
	s_delay_alu instid0(VALU_DEP_1) | instskip(SKIP_1) | instid1(SALU_CYCLE_1)
	v_cmp_lt_f16_e64 s0, 0, v8
	s_and_b32 s18, vcc_lo, s0
	s_and_saveexec_b32 s0, s18
	s_cbranch_execz .LBB4_5
; %bb.7:                                ;   in Loop: Header=BB4_6 Depth=1
	s_and_not1_b32 vcc_lo, exec_lo, s1
	s_cbranch_vccnz .LBB4_4
; %bb.8:                                ;   in Loop: Header=BB4_6 Depth=1
	global_load_u16 v9, v3, s[10:11]
	s_wait_loadcnt 0x0
	v_mul_f16_e32 v8, v8, v9
	s_branch .LBB4_4
.LBB4_9:
	s_or_b32 exec_lo, exec_lo, s16
	s_delay_alu instid0(SALU_CYCLE_1)
	s_mov_b32 s0, exec_lo
	s_wait_dscnt 0x0
	s_barrier_signal -1
	s_barrier_wait -1
	v_cmpx_eq_u32_e32 0, v0
	s_cbranch_execz .LBB4_19
; %bb.10:
	v_mov_b32_e32 v0, 0
	s_cmp_eq_u32 s15, 0
	s_cbranch_scc1 .LBB4_18
; %bb.11:
	s_cmp_lt_u32 s15, 8
	s_cbranch_scc1 .LBB4_15
; %bb.12:
	s_and_b32 s1, s15, 0xfff8
	s_mov_b32 s6, 0
	s_mov_b32 s7, 0
.LBB4_13:                               ; =>This Inner Loop Header: Depth=1
	v_mov_b32_e32 v1, s6
	s_add_co_i32 s7, s7, 8
	s_add_co_i32 s6, s6, 32
	s_cmp_eq_u32 s1, s7
	ds_load_b128 v[2:5], v1
	ds_load_b128 v[6:9], v1 offset:16
	s_wait_dscnt 0x1
	v_add_f32_e32 v0, v0, v2
	s_delay_alu instid0(VALU_DEP_1) | instskip(NEXT) | instid1(VALU_DEP_1)
	v_add_f32_e32 v0, v0, v3
	v_add_f32_e32 v0, v0, v4
	s_delay_alu instid0(VALU_DEP_1) | instskip(SKIP_1) | instid1(VALU_DEP_1)
	v_add_f32_e32 v0, v0, v5
	s_wait_dscnt 0x0
	v_add_f32_e32 v0, v0, v6
	s_delay_alu instid0(VALU_DEP_1) | instskip(NEXT) | instid1(VALU_DEP_1)
	v_add_f32_e32 v0, v0, v7
	v_add_f32_e32 v0, v0, v8
	s_delay_alu instid0(VALU_DEP_1)
	v_add_f32_e32 v0, v0, v9
	s_cbranch_scc0 .LBB4_13
; %bb.14:
	s_and_b32 s6, s15, 7
	s_delay_alu instid0(SALU_CYCLE_1)
	s_cmp_eq_u32 s6, 0
	s_cbranch_scc0 .LBB4_16
	s_branch .LBB4_18
.LBB4_15:
	s_mov_b32 s1, 0
	s_and_b32 s6, s15, 7
	s_delay_alu instid0(SALU_CYCLE_1)
	s_cmp_eq_u32 s6, 0
	s_cbranch_scc1 .LBB4_18
.LBB4_16:
	s_lshl_b32 s1, s1, 2
.LBB4_17:                               ; =>This Inner Loop Header: Depth=1
	s_delay_alu instid0(SALU_CYCLE_1)
	v_mov_b32_e32 v1, s1
	s_add_co_i32 s6, s6, -1
	s_add_co_i32 s1, s1, 4
	s_cmp_lg_u32 s6, 0
	ds_load_b32 v1, v1
	s_wait_dscnt 0x0
	v_add_f32_e32 v0, v0, v1
	s_cbranch_scc1 .LBB4_17
.LBB4_18:
	s_and_b32 s1, 1, s14
	s_lshl_b64 s[2:3], s[2:3], 1
	s_cmp_eq_u32 s1, 1
	s_add_nc_u64 s[2:3], s[4:5], s[2:3]
	s_cselect_b32 s1, s12, 1
	s_delay_alu instid0(SALU_CYCLE_1) | instskip(NEXT) | instid1(SALU_CYCLE_1)
	s_mul_i32 s1, s1, s13
	s_cvt_f32_i32 s1, s1
	s_delay_alu instid0(SALU_CYCLE_3) | instskip(NEXT) | instid1(VALU_DEP_1)
	v_div_scale_f32 v1, null, s1, s1, v0
	v_rcp_f32_e32 v2, v1
	v_nop
	v_xor_b32_e32 v1, 0x80000000, v1
	s_delay_alu instid0(TRANS32_DEP_1) | instid1(VALU_DEP_1)
	v_fma_f32 v3, v1, v2, 1.0
	s_delay_alu instid0(VALU_DEP_1) | instskip(SKIP_1) | instid1(VALU_DEP_1)
	v_fmac_f32_e32 v2, v3, v2
	v_div_scale_f32 v3, vcc_lo, v0, s1, v0
	v_mul_f32_e32 v4, v3, v2
	s_delay_alu instid0(VALU_DEP_1) | instskip(NEXT) | instid1(VALU_DEP_1)
	v_fma_f32 v5, v1, v4, v3
	v_fmac_f32_e32 v4, v5, v2
	s_delay_alu instid0(VALU_DEP_1) | instskip(NEXT) | instid1(VALU_DEP_1)
	v_fmac_f32_e32 v3, v1, v4
	v_div_fmas_f32 v1, v3, v2, v4
	s_delay_alu instid0(VALU_DEP_1) | instskip(SKIP_1) | instid1(VALU_DEP_2)
	v_div_fixup_f32 v0, v1, s1, v0
	v_mov_b32_e32 v1, 0
	v_cvt_f16_f32_e32 v0, v0
	global_store_b16 v1, v0, s[2:3]
.LBB4_19:
	s_wait_xcnt 0x0
	s_or_b32 exec_lo, exec_lo, s0
.LBB4_20:
	s_delay_alu instid0(SALU_CYCLE_1)
	s_and_b32 vcc_lo, exec_lo, s9
	s_cbranch_vccnz .LBB4_23
.LBB4_21:
	s_endpgm
.LBB4_22:
	s_cbranch_execz .LBB4_21
.LBB4_23:
	s_trap 2
	; divergent unreachable
	s_endpgm
	.section	.rodata,"a",@progbits
	.p2align	6, 0x0
	.amdhsa_kernel _ZN2at6native12_GLOBAL__N_130MultiMarginLoss_forward_kernelILi1EN3c104HalfEEEvPT0_PKS5_PKlS8_iibS5_
		.amdhsa_group_segment_fixed_size 512
		.amdhsa_private_segment_fixed_size 0
		.amdhsa_kernarg_size 304
		.amdhsa_user_sgpr_count 2
		.amdhsa_user_sgpr_dispatch_ptr 0
		.amdhsa_user_sgpr_queue_ptr 0
		.amdhsa_user_sgpr_kernarg_segment_ptr 1
		.amdhsa_user_sgpr_dispatch_id 0
		.amdhsa_user_sgpr_kernarg_preload_length 0
		.amdhsa_user_sgpr_kernarg_preload_offset 0
		.amdhsa_user_sgpr_private_segment_size 0
		.amdhsa_wavefront_size32 1
		.amdhsa_uses_dynamic_stack 0
		.amdhsa_enable_private_segment 0
		.amdhsa_system_sgpr_workgroup_id_x 1
		.amdhsa_system_sgpr_workgroup_id_y 0
		.amdhsa_system_sgpr_workgroup_id_z 0
		.amdhsa_system_sgpr_workgroup_info 0
		.amdhsa_system_vgpr_workitem_id 0
		.amdhsa_next_free_vgpr 10
		.amdhsa_next_free_sgpr 20
		.amdhsa_named_barrier_count 0
		.amdhsa_reserve_vcc 1
		.amdhsa_float_round_mode_32 0
		.amdhsa_float_round_mode_16_64 0
		.amdhsa_float_denorm_mode_32 3
		.amdhsa_float_denorm_mode_16_64 3
		.amdhsa_fp16_overflow 0
		.amdhsa_memory_ordered 1
		.amdhsa_forward_progress 1
		.amdhsa_inst_pref_size 7
		.amdhsa_round_robin_scheduling 0
		.amdhsa_exception_fp_ieee_invalid_op 0
		.amdhsa_exception_fp_denorm_src 0
		.amdhsa_exception_fp_ieee_div_zero 0
		.amdhsa_exception_fp_ieee_overflow 0
		.amdhsa_exception_fp_ieee_underflow 0
		.amdhsa_exception_fp_ieee_inexact 0
		.amdhsa_exception_int_div_zero 0
	.end_amdhsa_kernel
	.section	.text._ZN2at6native12_GLOBAL__N_130MultiMarginLoss_forward_kernelILi1EN3c104HalfEEEvPT0_PKS5_PKlS8_iibS5_,"axG",@progbits,_ZN2at6native12_GLOBAL__N_130MultiMarginLoss_forward_kernelILi1EN3c104HalfEEEvPT0_PKS5_PKlS8_iibS5_,comdat
.Lfunc_end4:
	.size	_ZN2at6native12_GLOBAL__N_130MultiMarginLoss_forward_kernelILi1EN3c104HalfEEEvPT0_PKS5_PKlS8_iibS5_, .Lfunc_end4-_ZN2at6native12_GLOBAL__N_130MultiMarginLoss_forward_kernelILi1EN3c104HalfEEEvPT0_PKS5_PKlS8_iibS5_
                                        ; -- End function
	.set _ZN2at6native12_GLOBAL__N_130MultiMarginLoss_forward_kernelILi1EN3c104HalfEEEvPT0_PKS5_PKlS8_iibS5_.num_vgpr, 10
	.set _ZN2at6native12_GLOBAL__N_130MultiMarginLoss_forward_kernelILi1EN3c104HalfEEEvPT0_PKS5_PKlS8_iibS5_.num_agpr, 0
	.set _ZN2at6native12_GLOBAL__N_130MultiMarginLoss_forward_kernelILi1EN3c104HalfEEEvPT0_PKS5_PKlS8_iibS5_.numbered_sgpr, 20
	.set _ZN2at6native12_GLOBAL__N_130MultiMarginLoss_forward_kernelILi1EN3c104HalfEEEvPT0_PKS5_PKlS8_iibS5_.num_named_barrier, 0
	.set _ZN2at6native12_GLOBAL__N_130MultiMarginLoss_forward_kernelILi1EN3c104HalfEEEvPT0_PKS5_PKlS8_iibS5_.private_seg_size, 0
	.set _ZN2at6native12_GLOBAL__N_130MultiMarginLoss_forward_kernelILi1EN3c104HalfEEEvPT0_PKS5_PKlS8_iibS5_.uses_vcc, 1
	.set _ZN2at6native12_GLOBAL__N_130MultiMarginLoss_forward_kernelILi1EN3c104HalfEEEvPT0_PKS5_PKlS8_iibS5_.uses_flat_scratch, 0
	.set _ZN2at6native12_GLOBAL__N_130MultiMarginLoss_forward_kernelILi1EN3c104HalfEEEvPT0_PKS5_PKlS8_iibS5_.has_dyn_sized_stack, 0
	.set _ZN2at6native12_GLOBAL__N_130MultiMarginLoss_forward_kernelILi1EN3c104HalfEEEvPT0_PKS5_PKlS8_iibS5_.has_recursion, 0
	.set _ZN2at6native12_GLOBAL__N_130MultiMarginLoss_forward_kernelILi1EN3c104HalfEEEvPT0_PKS5_PKlS8_iibS5_.has_indirect_call, 0
	.section	.AMDGPU.csdata,"",@progbits
; Kernel info:
; codeLenInByte = 892
; TotalNumSgprs: 22
; NumVgprs: 10
; ScratchSize: 0
; MemoryBound: 0
; FloatMode: 240
; IeeeMode: 1
; LDSByteSize: 512 bytes/workgroup (compile time only)
; SGPRBlocks: 0
; VGPRBlocks: 0
; NumSGPRsForWavesPerEU: 22
; NumVGPRsForWavesPerEU: 10
; NamedBarCnt: 0
; Occupancy: 16
; WaveLimiterHint : 1
; COMPUTE_PGM_RSRC2:SCRATCH_EN: 0
; COMPUTE_PGM_RSRC2:USER_SGPR: 2
; COMPUTE_PGM_RSRC2:TRAP_HANDLER: 0
; COMPUTE_PGM_RSRC2:TGID_X_EN: 1
; COMPUTE_PGM_RSRC2:TGID_Y_EN: 0
; COMPUTE_PGM_RSRC2:TGID_Z_EN: 0
; COMPUTE_PGM_RSRC2:TIDIG_COMP_CNT: 0
	.section	.text._ZN2at6native12_GLOBAL__N_130MultiMarginLoss_forward_kernelILi2EN3c104HalfEEEvPT0_PKS5_PKlS8_iibS5_,"axG",@progbits,_ZN2at6native12_GLOBAL__N_130MultiMarginLoss_forward_kernelILi2EN3c104HalfEEEvPT0_PKS5_PKlS8_iibS5_,comdat
	.globl	_ZN2at6native12_GLOBAL__N_130MultiMarginLoss_forward_kernelILi2EN3c104HalfEEEvPT0_PKS5_PKlS8_iibS5_ ; -- Begin function _ZN2at6native12_GLOBAL__N_130MultiMarginLoss_forward_kernelILi2EN3c104HalfEEEvPT0_PKS5_PKlS8_iibS5_
	.p2align	8
	.type	_ZN2at6native12_GLOBAL__N_130MultiMarginLoss_forward_kernelILi2EN3c104HalfEEEvPT0_PKS5_PKlS8_iibS5_,@function
_ZN2at6native12_GLOBAL__N_130MultiMarginLoss_forward_kernelILi2EN3c104HalfEEEvPT0_PKS5_PKlS8_iibS5_: ; @_ZN2at6native12_GLOBAL__N_130MultiMarginLoss_forward_kernelILi2EN3c104HalfEEEvPT0_PKS5_PKlS8_iibS5_
; %bb.0:
	s_load_b256 s[4:11], s[0:1], 0x0
	s_bfe_u32 s2, ttmp6, 0x4000c
	s_and_b32 s3, ttmp6, 15
	s_add_co_i32 s2, s2, 1
	s_getreg_b32 s12, hwreg(HW_REG_IB_STS2, 6, 4)
	s_mul_i32 s2, ttmp9, s2
	s_delay_alu instid0(SALU_CYCLE_1) | instskip(SKIP_2) | instid1(SALU_CYCLE_1)
	s_add_co_i32 s3, s3, s2
	s_cmp_eq_u32 s12, 0
	s_cselect_b32 s2, ttmp9, s3
	s_ashr_i32 s3, s2, 31
	s_delay_alu instid0(SALU_CYCLE_1)
	s_lshl_b64 s[12:13], s[2:3], 3
	s_wait_kmcnt 0x0
	s_add_nc_u64 s[8:9], s[8:9], s[12:13]
	s_load_b64 s[8:9], s[8:9], 0x0
	s_wait_kmcnt 0x0
	s_cmp_lt_i32 s8, 0
	s_cbranch_scc1 .LBB5_22
; %bb.1:
	s_load_b96 s[12:14], s[0:1], 0x20
	s_get_pc_i64 s[16:17]
	s_add_nc_u64 s[16:17], s[16:17], .str@rel64+4
	s_wait_kmcnt 0x0
	s_cmp_le_i32 s13, s8
	s_cselect_b32 s9, -1, 0
	s_cmp_eq_u64 s[16:17], 0
	s_cselect_b32 s15, -1, 0
	s_delay_alu instid0(SALU_CYCLE_1) | instskip(NEXT) | instid1(SALU_CYCLE_1)
	s_or_b32 s9, s9, s15
	s_and_not1_b32 vcc_lo, exec_lo, s9
	s_cbranch_vccz .LBB5_20
; %bb.2:
	s_load_b32 s15, s[0:1], 0x3c
	v_dual_lshlrev_b32 v1, 2, v0 :: v_dual_mov_b32 v3, 0
	s_mov_b32 s16, exec_lo
	ds_store_b32 v1, v3
	s_wait_kmcnt 0x0
	s_and_b32 s15, s15, 0xffff
	v_cmpx_gt_u32_e64 s13, v0
	s_cbranch_execz .LBB5_9
; %bb.3:
	s_mul_i32 s18, s13, s2
	v_dual_mov_b32 v2, s8 :: v_dual_mov_b32 v6, 0
	s_ashr_i32 s19, s18, 31
	s_load_b32 s0, s[0:1], 0x28
	s_lshl_b64 s[18:19], s[18:19], 1
	s_delay_alu instid0(SALU_CYCLE_1)
	s_add_nc_u64 s[18:19], s[6:7], s[18:19]
	s_lshl_b32 s6, s8, 1
	global_load_u16 v7, v2, s[18:19] scale_offset
	s_wait_xcnt 0x0
	v_lshlrev_b32_e32 v2, 1, v0
	s_mov_b32 s7, 0
	s_delay_alu instid0(SALU_CYCLE_1) | instskip(NEXT) | instid1(VALU_DEP_1)
	s_mov_b32 s17, s7
	v_add_nc_u64_e32 v[4:5], s[18:19], v[2:3]
	s_wait_kmcnt 0x0
	s_lshr_b32 s0, s0, 16
	s_cmp_lg_u64 s[10:11], 0
	s_add_nc_u64 s[10:11], s[10:11], s[6:7]
	s_cselect_b32 s1, -1, 0
	s_lshl_b32 s6, s15, 1
	s_wait_loadcnt 0x0
	v_sub_f16_e32 v2, s0, v7
	v_mov_b32_e32 v7, v0
	s_branch .LBB5_6
.LBB5_4:                                ;   in Loop: Header=BB5_6 Depth=1
	s_delay_alu instid0(VALU_DEP_1) | instskip(NEXT) | instid1(VALU_DEP_1)
	v_cvt_f32_f16_e32 v8, v8
	v_add_f32_e32 v6, v6, v8
	ds_store_b32 v1, v6
.LBB5_5:                                ;   in Loop: Header=BB5_6 Depth=1
	s_or_b32 exec_lo, exec_lo, s0
	v_add_nc_u32_e32 v7, s15, v7
	v_add_nc_u64_e32 v[4:5], s[6:7], v[4:5]
	s_delay_alu instid0(VALU_DEP_2) | instskip(SKIP_1) | instid1(SALU_CYCLE_1)
	v_cmp_le_i32_e32 vcc_lo, s13, v7
	s_or_b32 s17, vcc_lo, s17
	s_and_not1_b32 exec_lo, exec_lo, s17
	s_cbranch_execz .LBB5_9
.LBB5_6:                                ; =>This Inner Loop Header: Depth=1
	global_load_u16 v8, v[4:5], off
	v_cmp_ne_u32_e32 vcc_lo, s8, v7
	s_wait_loadcnt 0x0
	v_add_f16_e32 v8, v2, v8
	s_delay_alu instid0(VALU_DEP_1) | instskip(SKIP_1) | instid1(SALU_CYCLE_1)
	v_cmp_lt_f16_e64 s0, 0, v8
	s_and_b32 s18, vcc_lo, s0
	s_and_saveexec_b32 s0, s18
	s_cbranch_execz .LBB5_5
; %bb.7:                                ;   in Loop: Header=BB5_6 Depth=1
	v_mul_f16_e32 v8, v8, v8
	s_and_not1_b32 vcc_lo, exec_lo, s1
	s_cbranch_vccnz .LBB5_4
; %bb.8:                                ;   in Loop: Header=BB5_6 Depth=1
	global_load_u16 v9, v3, s[10:11]
	s_wait_loadcnt 0x0
	v_mul_f16_e32 v8, v8, v9
	s_branch .LBB5_4
.LBB5_9:
	s_or_b32 exec_lo, exec_lo, s16
	s_delay_alu instid0(SALU_CYCLE_1)
	s_mov_b32 s0, exec_lo
	s_wait_dscnt 0x0
	s_barrier_signal -1
	s_barrier_wait -1
	v_cmpx_eq_u32_e32 0, v0
	s_cbranch_execz .LBB5_19
; %bb.10:
	v_mov_b32_e32 v0, 0
	s_cmp_eq_u32 s15, 0
	s_cbranch_scc1 .LBB5_18
; %bb.11:
	s_cmp_lt_u32 s15, 8
	s_cbranch_scc1 .LBB5_15
; %bb.12:
	s_and_b32 s1, s15, 0xfff8
	s_mov_b32 s6, 0
	s_mov_b32 s7, 0
.LBB5_13:                               ; =>This Inner Loop Header: Depth=1
	v_mov_b32_e32 v1, s6
	s_add_co_i32 s7, s7, 8
	s_add_co_i32 s6, s6, 32
	s_cmp_eq_u32 s1, s7
	ds_load_b128 v[2:5], v1
	ds_load_b128 v[6:9], v1 offset:16
	s_wait_dscnt 0x1
	v_add_f32_e32 v0, v0, v2
	s_delay_alu instid0(VALU_DEP_1) | instskip(NEXT) | instid1(VALU_DEP_1)
	v_add_f32_e32 v0, v0, v3
	v_add_f32_e32 v0, v0, v4
	s_delay_alu instid0(VALU_DEP_1) | instskip(SKIP_1) | instid1(VALU_DEP_1)
	v_add_f32_e32 v0, v0, v5
	s_wait_dscnt 0x0
	v_add_f32_e32 v0, v0, v6
	s_delay_alu instid0(VALU_DEP_1) | instskip(NEXT) | instid1(VALU_DEP_1)
	v_add_f32_e32 v0, v0, v7
	v_add_f32_e32 v0, v0, v8
	s_delay_alu instid0(VALU_DEP_1)
	v_add_f32_e32 v0, v0, v9
	s_cbranch_scc0 .LBB5_13
; %bb.14:
	s_and_b32 s6, s15, 7
	s_delay_alu instid0(SALU_CYCLE_1)
	s_cmp_eq_u32 s6, 0
	s_cbranch_scc0 .LBB5_16
	s_branch .LBB5_18
.LBB5_15:
	s_mov_b32 s1, 0
	s_and_b32 s6, s15, 7
	s_delay_alu instid0(SALU_CYCLE_1)
	s_cmp_eq_u32 s6, 0
	s_cbranch_scc1 .LBB5_18
.LBB5_16:
	s_lshl_b32 s1, s1, 2
.LBB5_17:                               ; =>This Inner Loop Header: Depth=1
	s_delay_alu instid0(SALU_CYCLE_1)
	v_mov_b32_e32 v1, s1
	s_add_co_i32 s6, s6, -1
	s_add_co_i32 s1, s1, 4
	s_cmp_lg_u32 s6, 0
	ds_load_b32 v1, v1
	s_wait_dscnt 0x0
	v_add_f32_e32 v0, v0, v1
	s_cbranch_scc1 .LBB5_17
.LBB5_18:
	s_and_b32 s1, 1, s14
	s_lshl_b64 s[2:3], s[2:3], 1
	s_cmp_eq_u32 s1, 1
	s_add_nc_u64 s[2:3], s[4:5], s[2:3]
	s_cselect_b32 s1, s12, 1
	s_delay_alu instid0(SALU_CYCLE_1) | instskip(NEXT) | instid1(SALU_CYCLE_1)
	s_mul_i32 s1, s1, s13
	s_cvt_f32_i32 s1, s1
	s_delay_alu instid0(SALU_CYCLE_3) | instskip(NEXT) | instid1(VALU_DEP_1)
	v_div_scale_f32 v1, null, s1, s1, v0
	v_rcp_f32_e32 v2, v1
	v_nop
	v_xor_b32_e32 v1, 0x80000000, v1
	s_delay_alu instid0(TRANS32_DEP_1) | instid1(VALU_DEP_1)
	v_fma_f32 v3, v1, v2, 1.0
	s_delay_alu instid0(VALU_DEP_1) | instskip(SKIP_1) | instid1(VALU_DEP_1)
	v_fmac_f32_e32 v2, v3, v2
	v_div_scale_f32 v3, vcc_lo, v0, s1, v0
	v_mul_f32_e32 v4, v3, v2
	s_delay_alu instid0(VALU_DEP_1) | instskip(NEXT) | instid1(VALU_DEP_1)
	v_fma_f32 v5, v1, v4, v3
	v_fmac_f32_e32 v4, v5, v2
	s_delay_alu instid0(VALU_DEP_1) | instskip(NEXT) | instid1(VALU_DEP_1)
	v_fmac_f32_e32 v3, v1, v4
	v_div_fmas_f32 v1, v3, v2, v4
	s_delay_alu instid0(VALU_DEP_1) | instskip(SKIP_1) | instid1(VALU_DEP_2)
	v_div_fixup_f32 v0, v1, s1, v0
	v_mov_b32_e32 v1, 0
	v_cvt_f16_f32_e32 v0, v0
	global_store_b16 v1, v0, s[2:3]
.LBB5_19:
	s_wait_xcnt 0x0
	s_or_b32 exec_lo, exec_lo, s0
.LBB5_20:
	s_delay_alu instid0(SALU_CYCLE_1)
	s_and_b32 vcc_lo, exec_lo, s9
	s_cbranch_vccnz .LBB5_23
.LBB5_21:
	s_endpgm
.LBB5_22:
	s_cbranch_execz .LBB5_21
.LBB5_23:
	s_trap 2
	; divergent unreachable
	s_endpgm
	.section	.rodata,"a",@progbits
	.p2align	6, 0x0
	.amdhsa_kernel _ZN2at6native12_GLOBAL__N_130MultiMarginLoss_forward_kernelILi2EN3c104HalfEEEvPT0_PKS5_PKlS8_iibS5_
		.amdhsa_group_segment_fixed_size 512
		.amdhsa_private_segment_fixed_size 0
		.amdhsa_kernarg_size 304
		.amdhsa_user_sgpr_count 2
		.amdhsa_user_sgpr_dispatch_ptr 0
		.amdhsa_user_sgpr_queue_ptr 0
		.amdhsa_user_sgpr_kernarg_segment_ptr 1
		.amdhsa_user_sgpr_dispatch_id 0
		.amdhsa_user_sgpr_kernarg_preload_length 0
		.amdhsa_user_sgpr_kernarg_preload_offset 0
		.amdhsa_user_sgpr_private_segment_size 0
		.amdhsa_wavefront_size32 1
		.amdhsa_uses_dynamic_stack 0
		.amdhsa_enable_private_segment 0
		.amdhsa_system_sgpr_workgroup_id_x 1
		.amdhsa_system_sgpr_workgroup_id_y 0
		.amdhsa_system_sgpr_workgroup_id_z 0
		.amdhsa_system_sgpr_workgroup_info 0
		.amdhsa_system_vgpr_workitem_id 0
		.amdhsa_next_free_vgpr 10
		.amdhsa_next_free_sgpr 20
		.amdhsa_named_barrier_count 0
		.amdhsa_reserve_vcc 1
		.amdhsa_float_round_mode_32 0
		.amdhsa_float_round_mode_16_64 0
		.amdhsa_float_denorm_mode_32 3
		.amdhsa_float_denorm_mode_16_64 3
		.amdhsa_fp16_overflow 0
		.amdhsa_memory_ordered 1
		.amdhsa_forward_progress 1
		.amdhsa_inst_pref_size 7
		.amdhsa_round_robin_scheduling 0
		.amdhsa_exception_fp_ieee_invalid_op 0
		.amdhsa_exception_fp_denorm_src 0
		.amdhsa_exception_fp_ieee_div_zero 0
		.amdhsa_exception_fp_ieee_overflow 0
		.amdhsa_exception_fp_ieee_underflow 0
		.amdhsa_exception_fp_ieee_inexact 0
		.amdhsa_exception_int_div_zero 0
	.end_amdhsa_kernel
	.section	.text._ZN2at6native12_GLOBAL__N_130MultiMarginLoss_forward_kernelILi2EN3c104HalfEEEvPT0_PKS5_PKlS8_iibS5_,"axG",@progbits,_ZN2at6native12_GLOBAL__N_130MultiMarginLoss_forward_kernelILi2EN3c104HalfEEEvPT0_PKS5_PKlS8_iibS5_,comdat
.Lfunc_end5:
	.size	_ZN2at6native12_GLOBAL__N_130MultiMarginLoss_forward_kernelILi2EN3c104HalfEEEvPT0_PKS5_PKlS8_iibS5_, .Lfunc_end5-_ZN2at6native12_GLOBAL__N_130MultiMarginLoss_forward_kernelILi2EN3c104HalfEEEvPT0_PKS5_PKlS8_iibS5_
                                        ; -- End function
	.set _ZN2at6native12_GLOBAL__N_130MultiMarginLoss_forward_kernelILi2EN3c104HalfEEEvPT0_PKS5_PKlS8_iibS5_.num_vgpr, 10
	.set _ZN2at6native12_GLOBAL__N_130MultiMarginLoss_forward_kernelILi2EN3c104HalfEEEvPT0_PKS5_PKlS8_iibS5_.num_agpr, 0
	.set _ZN2at6native12_GLOBAL__N_130MultiMarginLoss_forward_kernelILi2EN3c104HalfEEEvPT0_PKS5_PKlS8_iibS5_.numbered_sgpr, 20
	.set _ZN2at6native12_GLOBAL__N_130MultiMarginLoss_forward_kernelILi2EN3c104HalfEEEvPT0_PKS5_PKlS8_iibS5_.num_named_barrier, 0
	.set _ZN2at6native12_GLOBAL__N_130MultiMarginLoss_forward_kernelILi2EN3c104HalfEEEvPT0_PKS5_PKlS8_iibS5_.private_seg_size, 0
	.set _ZN2at6native12_GLOBAL__N_130MultiMarginLoss_forward_kernelILi2EN3c104HalfEEEvPT0_PKS5_PKlS8_iibS5_.uses_vcc, 1
	.set _ZN2at6native12_GLOBAL__N_130MultiMarginLoss_forward_kernelILi2EN3c104HalfEEEvPT0_PKS5_PKlS8_iibS5_.uses_flat_scratch, 0
	.set _ZN2at6native12_GLOBAL__N_130MultiMarginLoss_forward_kernelILi2EN3c104HalfEEEvPT0_PKS5_PKlS8_iibS5_.has_dyn_sized_stack, 0
	.set _ZN2at6native12_GLOBAL__N_130MultiMarginLoss_forward_kernelILi2EN3c104HalfEEEvPT0_PKS5_PKlS8_iibS5_.has_recursion, 0
	.set _ZN2at6native12_GLOBAL__N_130MultiMarginLoss_forward_kernelILi2EN3c104HalfEEEvPT0_PKS5_PKlS8_iibS5_.has_indirect_call, 0
	.section	.AMDGPU.csdata,"",@progbits
; Kernel info:
; codeLenInByte = 896
; TotalNumSgprs: 22
; NumVgprs: 10
; ScratchSize: 0
; MemoryBound: 0
; FloatMode: 240
; IeeeMode: 1
; LDSByteSize: 512 bytes/workgroup (compile time only)
; SGPRBlocks: 0
; VGPRBlocks: 0
; NumSGPRsForWavesPerEU: 22
; NumVGPRsForWavesPerEU: 10
; NamedBarCnt: 0
; Occupancy: 16
; WaveLimiterHint : 1
; COMPUTE_PGM_RSRC2:SCRATCH_EN: 0
; COMPUTE_PGM_RSRC2:USER_SGPR: 2
; COMPUTE_PGM_RSRC2:TRAP_HANDLER: 0
; COMPUTE_PGM_RSRC2:TGID_X_EN: 1
; COMPUTE_PGM_RSRC2:TGID_Y_EN: 0
; COMPUTE_PGM_RSRC2:TGID_Z_EN: 0
; COMPUTE_PGM_RSRC2:TIDIG_COMP_CNT: 0
	.section	.text._ZN2at6native12_GLOBAL__N_130MultiMarginLoss_forward_kernelILi1EN3c108BFloat16EEEvPT0_PKS5_PKlS8_iibS5_,"axG",@progbits,_ZN2at6native12_GLOBAL__N_130MultiMarginLoss_forward_kernelILi1EN3c108BFloat16EEEvPT0_PKS5_PKlS8_iibS5_,comdat
	.globl	_ZN2at6native12_GLOBAL__N_130MultiMarginLoss_forward_kernelILi1EN3c108BFloat16EEEvPT0_PKS5_PKlS8_iibS5_ ; -- Begin function _ZN2at6native12_GLOBAL__N_130MultiMarginLoss_forward_kernelILi1EN3c108BFloat16EEEvPT0_PKS5_PKlS8_iibS5_
	.p2align	8
	.type	_ZN2at6native12_GLOBAL__N_130MultiMarginLoss_forward_kernelILi1EN3c108BFloat16EEEvPT0_PKS5_PKlS8_iibS5_,@function
_ZN2at6native12_GLOBAL__N_130MultiMarginLoss_forward_kernelILi1EN3c108BFloat16EEEvPT0_PKS5_PKlS8_iibS5_: ; @_ZN2at6native12_GLOBAL__N_130MultiMarginLoss_forward_kernelILi1EN3c108BFloat16EEEvPT0_PKS5_PKlS8_iibS5_
; %bb.0:
	s_load_b256 s[4:11], s[0:1], 0x0
	s_bfe_u32 s2, ttmp6, 0x4000c
	s_and_b32 s3, ttmp6, 15
	s_add_co_i32 s2, s2, 1
	s_getreg_b32 s12, hwreg(HW_REG_IB_STS2, 6, 4)
	s_mul_i32 s2, ttmp9, s2
	s_delay_alu instid0(SALU_CYCLE_1) | instskip(SKIP_2) | instid1(SALU_CYCLE_1)
	s_add_co_i32 s3, s3, s2
	s_cmp_eq_u32 s12, 0
	s_cselect_b32 s2, ttmp9, s3
	s_ashr_i32 s3, s2, 31
	s_delay_alu instid0(SALU_CYCLE_1)
	s_lshl_b64 s[12:13], s[2:3], 3
	s_wait_kmcnt 0x0
	s_add_nc_u64 s[8:9], s[8:9], s[12:13]
	s_load_b64 s[8:9], s[8:9], 0x0
	s_wait_kmcnt 0x0
	s_cmp_lt_i32 s8, 0
	s_cbranch_scc1 .LBB6_24
; %bb.1:
	s_load_b96 s[12:14], s[0:1], 0x20
	s_get_pc_i64 s[16:17]
	s_add_nc_u64 s[16:17], s[16:17], .str@rel64+4
	s_wait_kmcnt 0x0
	s_cmp_le_i32 s13, s8
	s_cselect_b32 s9, -1, 0
	s_cmp_eq_u64 s[16:17], 0
	s_cselect_b32 s15, -1, 0
	s_delay_alu instid0(SALU_CYCLE_1) | instskip(NEXT) | instid1(SALU_CYCLE_1)
	s_or_b32 s9, s9, s15
	s_and_not1_b32 vcc_lo, exec_lo, s9
	s_cbranch_vccz .LBB6_22
; %bb.2:
	s_load_b32 s15, s[0:1], 0x3c
	v_dual_lshlrev_b32 v1, 2, v0 :: v_dual_mov_b32 v3, 0
	s_mov_b32 s16, exec_lo
	ds_store_b32 v1, v3
	s_wait_kmcnt 0x0
	s_and_b32 s15, s15, 0xffff
	v_cmpx_gt_u32_e64 s13, v0
	s_cbranch_execz .LBB6_11
; %bb.3:
	s_mul_i32 s18, s13, s2
	v_lshlrev_b32_e32 v2, 1, v0
	s_ashr_i32 s19, s18, 31
	s_delay_alu instid0(SALU_CYCLE_1) | instskip(NEXT) | instid1(SALU_CYCLE_1)
	s_lshl_b64 s[18:19], s[18:19], 1
	s_add_nc_u64 s[6:7], s[6:7], s[18:19]
	s_load_b32 s17, s[0:1], 0x28
	s_load_u16 s18, s[6:7], s8 offset:0x0 scale_offset
	v_add_nc_u64_e32 v[4:5], s[6:7], v[2:3]
	v_mov_b32_e32 v2, v0
	s_wait_kmcnt 0x0
	s_and_b32 s0, s17, 0xffff0000
	s_lshl_b32 s1, s18, 16
	s_delay_alu instid0(SALU_CYCLE_1) | instskip(NEXT) | instid1(SALU_CYCLE_3)
	s_sub_f32 s1, s0, s1
	s_bfe_u32 s0, s1, 0x10010
	s_delay_alu instid0(SALU_CYCLE_1) | instskip(NEXT) | instid1(SALU_CYCLE_1)
	s_add_co_i32 s0, s1, s0
	s_add_co_i32 s17, s0, 0x7fff
	s_lshl_b32 s0, s8, 1
	s_and_b32 s17, s17, 0xffff0000
	s_cmp_o_f32 s1, s1
	s_mov_b32 s1, 0
	s_delay_alu instid0(SALU_CYCLE_1)
	s_add_nc_u64 s[6:7], s[10:11], s[0:1]
	s_cselect_b32 s17, s17, 0x7fc00000
	s_cmp_lg_u64 s[10:11], 0
	s_mov_b32 s10, s1
	s_cselect_b32 s18, -1, 0
	s_lshl_b32 s0, s15, 1
	s_branch .LBB6_7
.LBB6_4:                                ;   in Loop: Header=BB6_7 Depth=1
	s_delay_alu instid0(VALU_DEP_1)
	v_add_f32_e32 v3, v3, v6
	ds_store_b32 v1, v3
.LBB6_5:                                ;   in Loop: Header=BB6_7 Depth=1
	s_or_b32 exec_lo, exec_lo, s19
.LBB6_6:                                ;   in Loop: Header=BB6_7 Depth=1
	s_delay_alu instid0(SALU_CYCLE_1) | instskip(SKIP_2) | instid1(VALU_DEP_2)
	s_or_b32 exec_lo, exec_lo, s11
	v_add_nc_u32_e32 v2, s15, v2
	v_add_nc_u64_e32 v[4:5], s[0:1], v[4:5]
	v_cmp_le_i32_e32 vcc_lo, s13, v2
	s_or_b32 s10, vcc_lo, s10
	s_delay_alu instid0(SALU_CYCLE_1)
	s_and_not1_b32 exec_lo, exec_lo, s10
	s_cbranch_execz .LBB6_11
.LBB6_7:                                ; =>This Inner Loop Header: Depth=1
	s_mov_b32 s11, exec_lo
	v_cmpx_ne_u32_e64 s8, v2
	s_cbranch_execz .LBB6_6
; %bb.8:                                ;   in Loop: Header=BB6_7 Depth=1
	global_load_u16 v6, v[4:5], off
	s_mov_b32 s19, exec_lo
	s_wait_loadcnt 0x0
	v_lshlrev_b32_e32 v6, 16, v6
	s_delay_alu instid0(VALU_DEP_1) | instskip(NEXT) | instid1(VALU_DEP_1)
	v_add_f32_e32 v6, s17, v6
	v_bfe_u32 v7, v6, 16, 1
	v_cmp_o_f32_e32 vcc_lo, v6, v6
	s_delay_alu instid0(VALU_DEP_2) | instskip(NEXT) | instid1(VALU_DEP_1)
	v_add3_u32 v7, v6, v7, 0x7fff
	v_and_b32_e32 v7, 0xffff0000, v7
	s_delay_alu instid0(VALU_DEP_1) | instskip(NEXT) | instid1(VALU_DEP_1)
	v_cndmask_b32_e32 v6, 0x7fc00000, v7, vcc_lo
	v_cmpx_lt_f32_e32 0, v6
	s_cbranch_execz .LBB6_5
; %bb.9:                                ;   in Loop: Header=BB6_7 Depth=1
	s_and_not1_b32 vcc_lo, exec_lo, s18
	s_cbranch_vccnz .LBB6_4
; %bb.10:                               ;   in Loop: Header=BB6_7 Depth=1
	s_load_u16 s20, s[6:7], 0x0
	s_wait_kmcnt 0x0
	s_lshl_b32 s20, s20, 16
	s_delay_alu instid0(SALU_CYCLE_1) | instskip(NEXT) | instid1(VALU_DEP_1)
	v_mul_f32_e32 v6, s20, v6
	v_bfe_u32 v7, v6, 16, 1
	v_cmp_o_f32_e32 vcc_lo, v6, v6
	s_delay_alu instid0(VALU_DEP_2) | instskip(NEXT) | instid1(VALU_DEP_1)
	v_add3_u32 v7, v6, v7, 0x7fff
	v_and_b32_e32 v7, 0xffff0000, v7
	s_delay_alu instid0(VALU_DEP_1)
	v_cndmask_b32_e32 v6, 0x7fc00000, v7, vcc_lo
	s_branch .LBB6_4
.LBB6_11:
	s_or_b32 exec_lo, exec_lo, s16
	s_delay_alu instid0(SALU_CYCLE_1)
	s_mov_b32 s0, exec_lo
	s_wait_dscnt 0x0
	s_barrier_signal -1
	s_barrier_wait -1
	v_cmpx_eq_u32_e32 0, v0
	s_cbranch_execz .LBB6_21
; %bb.12:
	v_mov_b32_e32 v0, 0
	s_cmp_eq_u32 s15, 0
	s_cbranch_scc1 .LBB6_20
; %bb.13:
	s_cmp_lt_u32 s15, 8
	s_cbranch_scc1 .LBB6_17
; %bb.14:
	s_and_b32 s1, s15, 0xfff8
	s_mov_b32 s6, 0
	s_mov_b32 s7, 0
.LBB6_15:                               ; =>This Inner Loop Header: Depth=1
	v_mov_b32_e32 v1, s6
	s_add_co_i32 s7, s7, 8
	s_add_co_i32 s6, s6, 32
	s_cmp_eq_u32 s1, s7
	ds_load_b128 v[2:5], v1
	ds_load_b128 v[6:9], v1 offset:16
	s_wait_dscnt 0x1
	v_add_f32_e32 v0, v0, v2
	s_delay_alu instid0(VALU_DEP_1) | instskip(NEXT) | instid1(VALU_DEP_1)
	v_add_f32_e32 v0, v0, v3
	v_add_f32_e32 v0, v0, v4
	s_delay_alu instid0(VALU_DEP_1) | instskip(SKIP_1) | instid1(VALU_DEP_1)
	v_add_f32_e32 v0, v0, v5
	s_wait_dscnt 0x0
	v_add_f32_e32 v0, v0, v6
	s_delay_alu instid0(VALU_DEP_1) | instskip(NEXT) | instid1(VALU_DEP_1)
	v_add_f32_e32 v0, v0, v7
	v_add_f32_e32 v0, v0, v8
	s_delay_alu instid0(VALU_DEP_1)
	v_add_f32_e32 v0, v0, v9
	s_cbranch_scc0 .LBB6_15
; %bb.16:
	s_and_b32 s6, s15, 7
	s_delay_alu instid0(SALU_CYCLE_1)
	s_cmp_eq_u32 s6, 0
	s_cbranch_scc0 .LBB6_18
	s_branch .LBB6_20
.LBB6_17:
	s_mov_b32 s1, 0
	s_and_b32 s6, s15, 7
	s_delay_alu instid0(SALU_CYCLE_1)
	s_cmp_eq_u32 s6, 0
	s_cbranch_scc1 .LBB6_20
.LBB6_18:
	s_lshl_b32 s1, s1, 2
.LBB6_19:                               ; =>This Inner Loop Header: Depth=1
	s_delay_alu instid0(SALU_CYCLE_1)
	v_mov_b32_e32 v1, s1
	s_add_co_i32 s6, s6, -1
	s_add_co_i32 s1, s1, 4
	s_cmp_lg_u32 s6, 0
	ds_load_b32 v1, v1
	s_wait_dscnt 0x0
	v_add_f32_e32 v0, v0, v1
	s_cbranch_scc1 .LBB6_19
.LBB6_20:
	s_and_b32 s1, 1, s14
	s_lshl_b64 s[2:3], s[2:3], 1
	s_cmp_eq_u32 s1, 1
	s_add_nc_u64 s[2:3], s[4:5], s[2:3]
	s_cselect_b32 s1, s12, 1
	s_delay_alu instid0(SALU_CYCLE_1) | instskip(NEXT) | instid1(SALU_CYCLE_1)
	s_mul_i32 s1, s1, s13
	s_cvt_f32_i32 s1, s1
	s_delay_alu instid0(SALU_CYCLE_3) | instskip(NEXT) | instid1(VALU_DEP_1)
	v_div_scale_f32 v1, null, s1, s1, v0
	v_rcp_f32_e32 v2, v1
	v_nop
	v_xor_b32_e32 v1, 0x80000000, v1
	s_delay_alu instid0(TRANS32_DEP_1) | instid1(VALU_DEP_1)
	v_fma_f32 v3, v1, v2, 1.0
	s_delay_alu instid0(VALU_DEP_1) | instskip(SKIP_1) | instid1(VALU_DEP_1)
	v_fmac_f32_e32 v2, v3, v2
	v_div_scale_f32 v3, vcc_lo, v0, s1, v0
	v_mul_f32_e32 v4, v3, v2
	s_delay_alu instid0(VALU_DEP_1) | instskip(NEXT) | instid1(VALU_DEP_1)
	v_fma_f32 v5, v1, v4, v3
	v_fmac_f32_e32 v4, v5, v2
	s_delay_alu instid0(VALU_DEP_1) | instskip(NEXT) | instid1(VALU_DEP_1)
	v_fmac_f32_e32 v3, v1, v4
	v_div_fmas_f32 v1, v3, v2, v4
	v_mov_b32_e32 v2, 0
	s_delay_alu instid0(VALU_DEP_2) | instskip(NEXT) | instid1(VALU_DEP_1)
	v_div_fixup_f32 v0, v1, s1, v0
	v_bfe_u32 v1, v0, 16, 1
	v_cmp_o_f32_e32 vcc_lo, v0, v0
	s_delay_alu instid0(VALU_DEP_2) | instskip(NEXT) | instid1(VALU_DEP_1)
	v_add_nc_u32_e32 v1, v0, v1
	v_add_nc_u32_e32 v1, 0x7fff, v1
	s_delay_alu instid0(VALU_DEP_1) | instskip(NEXT) | instid1(VALU_DEP_1)
	v_lshrrev_b32_e32 v1, 16, v1
	v_cndmask_b32_e32 v0, 0x7fc0, v1, vcc_lo
	global_store_b16 v2, v0, s[2:3]
.LBB6_21:
	s_wait_xcnt 0x0
	s_or_b32 exec_lo, exec_lo, s0
.LBB6_22:
	s_delay_alu instid0(SALU_CYCLE_1)
	s_and_b32 vcc_lo, exec_lo, s9
	s_cbranch_vccnz .LBB6_25
.LBB6_23:
	s_endpgm
.LBB6_24:
	s_cbranch_execz .LBB6_23
.LBB6_25:
	s_trap 2
	; divergent unreachable
	s_endpgm
	.section	.rodata,"a",@progbits
	.p2align	6, 0x0
	.amdhsa_kernel _ZN2at6native12_GLOBAL__N_130MultiMarginLoss_forward_kernelILi1EN3c108BFloat16EEEvPT0_PKS5_PKlS8_iibS5_
		.amdhsa_group_segment_fixed_size 512
		.amdhsa_private_segment_fixed_size 0
		.amdhsa_kernarg_size 304
		.amdhsa_user_sgpr_count 2
		.amdhsa_user_sgpr_dispatch_ptr 0
		.amdhsa_user_sgpr_queue_ptr 0
		.amdhsa_user_sgpr_kernarg_segment_ptr 1
		.amdhsa_user_sgpr_dispatch_id 0
		.amdhsa_user_sgpr_kernarg_preload_length 0
		.amdhsa_user_sgpr_kernarg_preload_offset 0
		.amdhsa_user_sgpr_private_segment_size 0
		.amdhsa_wavefront_size32 1
		.amdhsa_uses_dynamic_stack 0
		.amdhsa_enable_private_segment 0
		.amdhsa_system_sgpr_workgroup_id_x 1
		.amdhsa_system_sgpr_workgroup_id_y 0
		.amdhsa_system_sgpr_workgroup_id_z 0
		.amdhsa_system_sgpr_workgroup_info 0
		.amdhsa_system_vgpr_workitem_id 0
		.amdhsa_next_free_vgpr 10
		.amdhsa_next_free_sgpr 21
		.amdhsa_named_barrier_count 0
		.amdhsa_reserve_vcc 1
		.amdhsa_float_round_mode_32 0
		.amdhsa_float_round_mode_16_64 0
		.amdhsa_float_denorm_mode_32 3
		.amdhsa_float_denorm_mode_16_64 3
		.amdhsa_fp16_overflow 0
		.amdhsa_memory_ordered 1
		.amdhsa_forward_progress 1
		.amdhsa_inst_pref_size 9
		.amdhsa_round_robin_scheduling 0
		.amdhsa_exception_fp_ieee_invalid_op 0
		.amdhsa_exception_fp_denorm_src 0
		.amdhsa_exception_fp_ieee_div_zero 0
		.amdhsa_exception_fp_ieee_overflow 0
		.amdhsa_exception_fp_ieee_underflow 0
		.amdhsa_exception_fp_ieee_inexact 0
		.amdhsa_exception_int_div_zero 0
	.end_amdhsa_kernel
	.section	.text._ZN2at6native12_GLOBAL__N_130MultiMarginLoss_forward_kernelILi1EN3c108BFloat16EEEvPT0_PKS5_PKlS8_iibS5_,"axG",@progbits,_ZN2at6native12_GLOBAL__N_130MultiMarginLoss_forward_kernelILi1EN3c108BFloat16EEEvPT0_PKS5_PKlS8_iibS5_,comdat
.Lfunc_end6:
	.size	_ZN2at6native12_GLOBAL__N_130MultiMarginLoss_forward_kernelILi1EN3c108BFloat16EEEvPT0_PKS5_PKlS8_iibS5_, .Lfunc_end6-_ZN2at6native12_GLOBAL__N_130MultiMarginLoss_forward_kernelILi1EN3c108BFloat16EEEvPT0_PKS5_PKlS8_iibS5_
                                        ; -- End function
	.set _ZN2at6native12_GLOBAL__N_130MultiMarginLoss_forward_kernelILi1EN3c108BFloat16EEEvPT0_PKS5_PKlS8_iibS5_.num_vgpr, 10
	.set _ZN2at6native12_GLOBAL__N_130MultiMarginLoss_forward_kernelILi1EN3c108BFloat16EEEvPT0_PKS5_PKlS8_iibS5_.num_agpr, 0
	.set _ZN2at6native12_GLOBAL__N_130MultiMarginLoss_forward_kernelILi1EN3c108BFloat16EEEvPT0_PKS5_PKlS8_iibS5_.numbered_sgpr, 21
	.set _ZN2at6native12_GLOBAL__N_130MultiMarginLoss_forward_kernelILi1EN3c108BFloat16EEEvPT0_PKS5_PKlS8_iibS5_.num_named_barrier, 0
	.set _ZN2at6native12_GLOBAL__N_130MultiMarginLoss_forward_kernelILi1EN3c108BFloat16EEEvPT0_PKS5_PKlS8_iibS5_.private_seg_size, 0
	.set _ZN2at6native12_GLOBAL__N_130MultiMarginLoss_forward_kernelILi1EN3c108BFloat16EEEvPT0_PKS5_PKlS8_iibS5_.uses_vcc, 1
	.set _ZN2at6native12_GLOBAL__N_130MultiMarginLoss_forward_kernelILi1EN3c108BFloat16EEEvPT0_PKS5_PKlS8_iibS5_.uses_flat_scratch, 0
	.set _ZN2at6native12_GLOBAL__N_130MultiMarginLoss_forward_kernelILi1EN3c108BFloat16EEEvPT0_PKS5_PKlS8_iibS5_.has_dyn_sized_stack, 0
	.set _ZN2at6native12_GLOBAL__N_130MultiMarginLoss_forward_kernelILi1EN3c108BFloat16EEEvPT0_PKS5_PKlS8_iibS5_.has_recursion, 0
	.set _ZN2at6native12_GLOBAL__N_130MultiMarginLoss_forward_kernelILi1EN3c108BFloat16EEEvPT0_PKS5_PKlS8_iibS5_.has_indirect_call, 0
	.section	.AMDGPU.csdata,"",@progbits
; Kernel info:
; codeLenInByte = 1076
; TotalNumSgprs: 23
; NumVgprs: 10
; ScratchSize: 0
; MemoryBound: 0
; FloatMode: 240
; IeeeMode: 1
; LDSByteSize: 512 bytes/workgroup (compile time only)
; SGPRBlocks: 0
; VGPRBlocks: 0
; NumSGPRsForWavesPerEU: 23
; NumVGPRsForWavesPerEU: 10
; NamedBarCnt: 0
; Occupancy: 16
; WaveLimiterHint : 1
; COMPUTE_PGM_RSRC2:SCRATCH_EN: 0
; COMPUTE_PGM_RSRC2:USER_SGPR: 2
; COMPUTE_PGM_RSRC2:TRAP_HANDLER: 0
; COMPUTE_PGM_RSRC2:TGID_X_EN: 1
; COMPUTE_PGM_RSRC2:TGID_Y_EN: 0
; COMPUTE_PGM_RSRC2:TGID_Z_EN: 0
; COMPUTE_PGM_RSRC2:TIDIG_COMP_CNT: 0
	.section	.text._ZN2at6native12_GLOBAL__N_130MultiMarginLoss_forward_kernelILi2EN3c108BFloat16EEEvPT0_PKS5_PKlS8_iibS5_,"axG",@progbits,_ZN2at6native12_GLOBAL__N_130MultiMarginLoss_forward_kernelILi2EN3c108BFloat16EEEvPT0_PKS5_PKlS8_iibS5_,comdat
	.globl	_ZN2at6native12_GLOBAL__N_130MultiMarginLoss_forward_kernelILi2EN3c108BFloat16EEEvPT0_PKS5_PKlS8_iibS5_ ; -- Begin function _ZN2at6native12_GLOBAL__N_130MultiMarginLoss_forward_kernelILi2EN3c108BFloat16EEEvPT0_PKS5_PKlS8_iibS5_
	.p2align	8
	.type	_ZN2at6native12_GLOBAL__N_130MultiMarginLoss_forward_kernelILi2EN3c108BFloat16EEEvPT0_PKS5_PKlS8_iibS5_,@function
_ZN2at6native12_GLOBAL__N_130MultiMarginLoss_forward_kernelILi2EN3c108BFloat16EEEvPT0_PKS5_PKlS8_iibS5_: ; @_ZN2at6native12_GLOBAL__N_130MultiMarginLoss_forward_kernelILi2EN3c108BFloat16EEEvPT0_PKS5_PKlS8_iibS5_
; %bb.0:
	s_load_b256 s[4:11], s[0:1], 0x0
	s_bfe_u32 s2, ttmp6, 0x4000c
	s_and_b32 s3, ttmp6, 15
	s_add_co_i32 s2, s2, 1
	s_getreg_b32 s12, hwreg(HW_REG_IB_STS2, 6, 4)
	s_mul_i32 s2, ttmp9, s2
	s_delay_alu instid0(SALU_CYCLE_1) | instskip(SKIP_2) | instid1(SALU_CYCLE_1)
	s_add_co_i32 s3, s3, s2
	s_cmp_eq_u32 s12, 0
	s_cselect_b32 s2, ttmp9, s3
	s_ashr_i32 s3, s2, 31
	s_delay_alu instid0(SALU_CYCLE_1)
	s_lshl_b64 s[12:13], s[2:3], 3
	s_wait_kmcnt 0x0
	s_add_nc_u64 s[8:9], s[8:9], s[12:13]
	s_load_b64 s[8:9], s[8:9], 0x0
	s_wait_kmcnt 0x0
	s_cmp_lt_i32 s8, 0
	s_cbranch_scc1 .LBB7_24
; %bb.1:
	s_load_b96 s[12:14], s[0:1], 0x20
	s_get_pc_i64 s[16:17]
	s_add_nc_u64 s[16:17], s[16:17], .str@rel64+4
	s_wait_kmcnt 0x0
	s_cmp_le_i32 s13, s8
	s_cselect_b32 s9, -1, 0
	s_cmp_eq_u64 s[16:17], 0
	s_cselect_b32 s15, -1, 0
	s_delay_alu instid0(SALU_CYCLE_1) | instskip(NEXT) | instid1(SALU_CYCLE_1)
	s_or_b32 s9, s9, s15
	s_and_not1_b32 vcc_lo, exec_lo, s9
	s_cbranch_vccz .LBB7_22
; %bb.2:
	s_load_b32 s15, s[0:1], 0x3c
	v_dual_lshlrev_b32 v1, 2, v0 :: v_dual_mov_b32 v3, 0
	s_mov_b32 s16, exec_lo
	ds_store_b32 v1, v3
	s_wait_kmcnt 0x0
	s_and_b32 s15, s15, 0xffff
	v_cmpx_gt_u32_e64 s13, v0
	s_cbranch_execz .LBB7_11
; %bb.3:
	s_mul_i32 s18, s13, s2
	v_lshlrev_b32_e32 v2, 1, v0
	s_ashr_i32 s19, s18, 31
	s_delay_alu instid0(SALU_CYCLE_1) | instskip(NEXT) | instid1(SALU_CYCLE_1)
	s_lshl_b64 s[18:19], s[18:19], 1
	s_add_nc_u64 s[6:7], s[6:7], s[18:19]
	s_load_b32 s17, s[0:1], 0x28
	s_load_u16 s18, s[6:7], s8 offset:0x0 scale_offset
	v_add_nc_u64_e32 v[4:5], s[6:7], v[2:3]
	v_mov_b32_e32 v2, v0
	s_wait_kmcnt 0x0
	s_and_b32 s0, s17, 0xffff0000
	s_lshl_b32 s1, s18, 16
	s_delay_alu instid0(SALU_CYCLE_1) | instskip(NEXT) | instid1(SALU_CYCLE_3)
	s_sub_f32 s1, s0, s1
	s_bfe_u32 s0, s1, 0x10010
	s_delay_alu instid0(SALU_CYCLE_1) | instskip(NEXT) | instid1(SALU_CYCLE_1)
	s_add_co_i32 s0, s1, s0
	s_add_co_i32 s17, s0, 0x7fff
	s_lshl_b32 s0, s8, 1
	s_and_b32 s17, s17, 0xffff0000
	s_cmp_o_f32 s1, s1
	s_mov_b32 s1, 0
	s_delay_alu instid0(SALU_CYCLE_1)
	s_add_nc_u64 s[6:7], s[10:11], s[0:1]
	s_cselect_b32 s17, s17, 0x7fc00000
	s_cmp_lg_u64 s[10:11], 0
	s_mov_b32 s10, s1
	s_cselect_b32 s18, -1, 0
	s_lshl_b32 s0, s15, 1
	s_branch .LBB7_7
.LBB7_4:                                ;   in Loop: Header=BB7_7 Depth=1
	s_delay_alu instid0(VALU_DEP_1)
	v_add_f32_e32 v3, v3, v6
	ds_store_b32 v1, v3
.LBB7_5:                                ;   in Loop: Header=BB7_7 Depth=1
	s_or_b32 exec_lo, exec_lo, s19
.LBB7_6:                                ;   in Loop: Header=BB7_7 Depth=1
	s_delay_alu instid0(SALU_CYCLE_1) | instskip(SKIP_2) | instid1(VALU_DEP_2)
	s_or_b32 exec_lo, exec_lo, s11
	v_add_nc_u32_e32 v2, s15, v2
	v_add_nc_u64_e32 v[4:5], s[0:1], v[4:5]
	v_cmp_le_i32_e32 vcc_lo, s13, v2
	s_or_b32 s10, vcc_lo, s10
	s_delay_alu instid0(SALU_CYCLE_1)
	s_and_not1_b32 exec_lo, exec_lo, s10
	s_cbranch_execz .LBB7_11
.LBB7_7:                                ; =>This Inner Loop Header: Depth=1
	s_mov_b32 s11, exec_lo
	v_cmpx_ne_u32_e64 s8, v2
	s_cbranch_execz .LBB7_6
; %bb.8:                                ;   in Loop: Header=BB7_7 Depth=1
	global_load_u16 v6, v[4:5], off
	s_mov_b32 s19, exec_lo
	s_wait_loadcnt 0x0
	v_lshlrev_b32_e32 v6, 16, v6
	s_delay_alu instid0(VALU_DEP_1) | instskip(NEXT) | instid1(VALU_DEP_1)
	v_add_f32_e32 v6, s17, v6
	v_bfe_u32 v7, v6, 16, 1
	v_cmp_o_f32_e32 vcc_lo, v6, v6
	s_delay_alu instid0(VALU_DEP_2) | instskip(NEXT) | instid1(VALU_DEP_1)
	v_add3_u32 v7, v6, v7, 0x7fff
	v_and_b32_e32 v7, 0xffff0000, v7
	s_delay_alu instid0(VALU_DEP_1) | instskip(NEXT) | instid1(VALU_DEP_1)
	v_cndmask_b32_e32 v6, 0x7fc00000, v7, vcc_lo
	v_cmpx_lt_f32_e32 0, v6
	s_cbranch_execz .LBB7_5
; %bb.9:                                ;   in Loop: Header=BB7_7 Depth=1
	v_mul_f32_e32 v6, v6, v6
	s_and_not1_b32 vcc_lo, exec_lo, s18
	s_delay_alu instid0(VALU_DEP_1) | instskip(NEXT) | instid1(VALU_DEP_1)
	v_bfe_u32 v7, v6, 16, 1
	v_add3_u32 v6, v6, v7, 0x7fff
	s_delay_alu instid0(VALU_DEP_1)
	v_and_b32_e32 v6, 0xffff0000, v6
	s_cbranch_vccnz .LBB7_4
; %bb.10:                               ;   in Loop: Header=BB7_7 Depth=1
	s_load_u16 s20, s[6:7], 0x0
	s_wait_kmcnt 0x0
	s_lshl_b32 s20, s20, 16
	s_delay_alu instid0(SALU_CYCLE_1) | instskip(NEXT) | instid1(VALU_DEP_1)
	v_mul_f32_e32 v6, s20, v6
	v_bfe_u32 v7, v6, 16, 1
	v_cmp_o_f32_e32 vcc_lo, v6, v6
	s_delay_alu instid0(VALU_DEP_2) | instskip(NEXT) | instid1(VALU_DEP_1)
	v_add3_u32 v7, v6, v7, 0x7fff
	v_and_b32_e32 v7, 0xffff0000, v7
	s_delay_alu instid0(VALU_DEP_1)
	v_cndmask_b32_e32 v6, 0x7fc00000, v7, vcc_lo
	s_branch .LBB7_4
.LBB7_11:
	s_or_b32 exec_lo, exec_lo, s16
	s_delay_alu instid0(SALU_CYCLE_1)
	s_mov_b32 s0, exec_lo
	s_wait_dscnt 0x0
	s_barrier_signal -1
	s_barrier_wait -1
	v_cmpx_eq_u32_e32 0, v0
	s_cbranch_execz .LBB7_21
; %bb.12:
	v_mov_b32_e32 v0, 0
	s_cmp_eq_u32 s15, 0
	s_cbranch_scc1 .LBB7_20
; %bb.13:
	s_cmp_lt_u32 s15, 8
	s_cbranch_scc1 .LBB7_17
; %bb.14:
	s_and_b32 s1, s15, 0xfff8
	s_mov_b32 s6, 0
	s_mov_b32 s7, 0
.LBB7_15:                               ; =>This Inner Loop Header: Depth=1
	v_mov_b32_e32 v1, s6
	s_add_co_i32 s7, s7, 8
	s_add_co_i32 s6, s6, 32
	s_cmp_eq_u32 s1, s7
	ds_load_b128 v[2:5], v1
	ds_load_b128 v[6:9], v1 offset:16
	s_wait_dscnt 0x1
	v_add_f32_e32 v0, v0, v2
	s_delay_alu instid0(VALU_DEP_1) | instskip(NEXT) | instid1(VALU_DEP_1)
	v_add_f32_e32 v0, v0, v3
	v_add_f32_e32 v0, v0, v4
	s_delay_alu instid0(VALU_DEP_1) | instskip(SKIP_1) | instid1(VALU_DEP_1)
	v_add_f32_e32 v0, v0, v5
	s_wait_dscnt 0x0
	v_add_f32_e32 v0, v0, v6
	s_delay_alu instid0(VALU_DEP_1) | instskip(NEXT) | instid1(VALU_DEP_1)
	v_add_f32_e32 v0, v0, v7
	v_add_f32_e32 v0, v0, v8
	s_delay_alu instid0(VALU_DEP_1)
	v_add_f32_e32 v0, v0, v9
	s_cbranch_scc0 .LBB7_15
; %bb.16:
	s_and_b32 s6, s15, 7
	s_delay_alu instid0(SALU_CYCLE_1)
	s_cmp_eq_u32 s6, 0
	s_cbranch_scc0 .LBB7_18
	s_branch .LBB7_20
.LBB7_17:
	s_mov_b32 s1, 0
	s_and_b32 s6, s15, 7
	s_delay_alu instid0(SALU_CYCLE_1)
	s_cmp_eq_u32 s6, 0
	s_cbranch_scc1 .LBB7_20
.LBB7_18:
	s_lshl_b32 s1, s1, 2
.LBB7_19:                               ; =>This Inner Loop Header: Depth=1
	s_delay_alu instid0(SALU_CYCLE_1)
	v_mov_b32_e32 v1, s1
	s_add_co_i32 s6, s6, -1
	s_add_co_i32 s1, s1, 4
	s_cmp_lg_u32 s6, 0
	ds_load_b32 v1, v1
	s_wait_dscnt 0x0
	v_add_f32_e32 v0, v0, v1
	s_cbranch_scc1 .LBB7_19
.LBB7_20:
	s_and_b32 s1, 1, s14
	s_lshl_b64 s[2:3], s[2:3], 1
	s_cmp_eq_u32 s1, 1
	s_add_nc_u64 s[2:3], s[4:5], s[2:3]
	s_cselect_b32 s1, s12, 1
	s_delay_alu instid0(SALU_CYCLE_1) | instskip(NEXT) | instid1(SALU_CYCLE_1)
	s_mul_i32 s1, s1, s13
	s_cvt_f32_i32 s1, s1
	s_delay_alu instid0(SALU_CYCLE_3) | instskip(NEXT) | instid1(VALU_DEP_1)
	v_div_scale_f32 v1, null, s1, s1, v0
	v_rcp_f32_e32 v2, v1
	v_nop
	v_xor_b32_e32 v1, 0x80000000, v1
	s_delay_alu instid0(TRANS32_DEP_1) | instid1(VALU_DEP_1)
	v_fma_f32 v3, v1, v2, 1.0
	s_delay_alu instid0(VALU_DEP_1) | instskip(SKIP_1) | instid1(VALU_DEP_1)
	v_fmac_f32_e32 v2, v3, v2
	v_div_scale_f32 v3, vcc_lo, v0, s1, v0
	v_mul_f32_e32 v4, v3, v2
	s_delay_alu instid0(VALU_DEP_1) | instskip(NEXT) | instid1(VALU_DEP_1)
	v_fma_f32 v5, v1, v4, v3
	v_fmac_f32_e32 v4, v5, v2
	s_delay_alu instid0(VALU_DEP_1) | instskip(NEXT) | instid1(VALU_DEP_1)
	v_fmac_f32_e32 v3, v1, v4
	v_div_fmas_f32 v1, v3, v2, v4
	v_mov_b32_e32 v2, 0
	s_delay_alu instid0(VALU_DEP_2) | instskip(NEXT) | instid1(VALU_DEP_1)
	v_div_fixup_f32 v0, v1, s1, v0
	v_bfe_u32 v1, v0, 16, 1
	v_cmp_o_f32_e32 vcc_lo, v0, v0
	s_delay_alu instid0(VALU_DEP_2) | instskip(NEXT) | instid1(VALU_DEP_1)
	v_add_nc_u32_e32 v1, v0, v1
	v_add_nc_u32_e32 v1, 0x7fff, v1
	s_delay_alu instid0(VALU_DEP_1) | instskip(NEXT) | instid1(VALU_DEP_1)
	v_lshrrev_b32_e32 v1, 16, v1
	v_cndmask_b32_e32 v0, 0x7fc0, v1, vcc_lo
	global_store_b16 v2, v0, s[2:3]
.LBB7_21:
	s_wait_xcnt 0x0
	s_or_b32 exec_lo, exec_lo, s0
.LBB7_22:
	s_delay_alu instid0(SALU_CYCLE_1)
	s_and_b32 vcc_lo, exec_lo, s9
	s_cbranch_vccnz .LBB7_25
.LBB7_23:
	s_endpgm
.LBB7_24:
	s_cbranch_execz .LBB7_23
.LBB7_25:
	s_trap 2
	; divergent unreachable
	s_endpgm
	.section	.rodata,"a",@progbits
	.p2align	6, 0x0
	.amdhsa_kernel _ZN2at6native12_GLOBAL__N_130MultiMarginLoss_forward_kernelILi2EN3c108BFloat16EEEvPT0_PKS5_PKlS8_iibS5_
		.amdhsa_group_segment_fixed_size 512
		.amdhsa_private_segment_fixed_size 0
		.amdhsa_kernarg_size 304
		.amdhsa_user_sgpr_count 2
		.amdhsa_user_sgpr_dispatch_ptr 0
		.amdhsa_user_sgpr_queue_ptr 0
		.amdhsa_user_sgpr_kernarg_segment_ptr 1
		.amdhsa_user_sgpr_dispatch_id 0
		.amdhsa_user_sgpr_kernarg_preload_length 0
		.amdhsa_user_sgpr_kernarg_preload_offset 0
		.amdhsa_user_sgpr_private_segment_size 0
		.amdhsa_wavefront_size32 1
		.amdhsa_uses_dynamic_stack 0
		.amdhsa_enable_private_segment 0
		.amdhsa_system_sgpr_workgroup_id_x 1
		.amdhsa_system_sgpr_workgroup_id_y 0
		.amdhsa_system_sgpr_workgroup_id_z 0
		.amdhsa_system_sgpr_workgroup_info 0
		.amdhsa_system_vgpr_workitem_id 0
		.amdhsa_next_free_vgpr 10
		.amdhsa_next_free_sgpr 21
		.amdhsa_named_barrier_count 0
		.amdhsa_reserve_vcc 1
		.amdhsa_float_round_mode_32 0
		.amdhsa_float_round_mode_16_64 0
		.amdhsa_float_denorm_mode_32 3
		.amdhsa_float_denorm_mode_16_64 3
		.amdhsa_fp16_overflow 0
		.amdhsa_memory_ordered 1
		.amdhsa_forward_progress 1
		.amdhsa_inst_pref_size 9
		.amdhsa_round_robin_scheduling 0
		.amdhsa_exception_fp_ieee_invalid_op 0
		.amdhsa_exception_fp_denorm_src 0
		.amdhsa_exception_fp_ieee_div_zero 0
		.amdhsa_exception_fp_ieee_overflow 0
		.amdhsa_exception_fp_ieee_underflow 0
		.amdhsa_exception_fp_ieee_inexact 0
		.amdhsa_exception_int_div_zero 0
	.end_amdhsa_kernel
	.section	.text._ZN2at6native12_GLOBAL__N_130MultiMarginLoss_forward_kernelILi2EN3c108BFloat16EEEvPT0_PKS5_PKlS8_iibS5_,"axG",@progbits,_ZN2at6native12_GLOBAL__N_130MultiMarginLoss_forward_kernelILi2EN3c108BFloat16EEEvPT0_PKS5_PKlS8_iibS5_,comdat
.Lfunc_end7:
	.size	_ZN2at6native12_GLOBAL__N_130MultiMarginLoss_forward_kernelILi2EN3c108BFloat16EEEvPT0_PKS5_PKlS8_iibS5_, .Lfunc_end7-_ZN2at6native12_GLOBAL__N_130MultiMarginLoss_forward_kernelILi2EN3c108BFloat16EEEvPT0_PKS5_PKlS8_iibS5_
                                        ; -- End function
	.set _ZN2at6native12_GLOBAL__N_130MultiMarginLoss_forward_kernelILi2EN3c108BFloat16EEEvPT0_PKS5_PKlS8_iibS5_.num_vgpr, 10
	.set _ZN2at6native12_GLOBAL__N_130MultiMarginLoss_forward_kernelILi2EN3c108BFloat16EEEvPT0_PKS5_PKlS8_iibS5_.num_agpr, 0
	.set _ZN2at6native12_GLOBAL__N_130MultiMarginLoss_forward_kernelILi2EN3c108BFloat16EEEvPT0_PKS5_PKlS8_iibS5_.numbered_sgpr, 21
	.set _ZN2at6native12_GLOBAL__N_130MultiMarginLoss_forward_kernelILi2EN3c108BFloat16EEEvPT0_PKS5_PKlS8_iibS5_.num_named_barrier, 0
	.set _ZN2at6native12_GLOBAL__N_130MultiMarginLoss_forward_kernelILi2EN3c108BFloat16EEEvPT0_PKS5_PKlS8_iibS5_.private_seg_size, 0
	.set _ZN2at6native12_GLOBAL__N_130MultiMarginLoss_forward_kernelILi2EN3c108BFloat16EEEvPT0_PKS5_PKlS8_iibS5_.uses_vcc, 1
	.set _ZN2at6native12_GLOBAL__N_130MultiMarginLoss_forward_kernelILi2EN3c108BFloat16EEEvPT0_PKS5_PKlS8_iibS5_.uses_flat_scratch, 0
	.set _ZN2at6native12_GLOBAL__N_130MultiMarginLoss_forward_kernelILi2EN3c108BFloat16EEEvPT0_PKS5_PKlS8_iibS5_.has_dyn_sized_stack, 0
	.set _ZN2at6native12_GLOBAL__N_130MultiMarginLoss_forward_kernelILi2EN3c108BFloat16EEEvPT0_PKS5_PKlS8_iibS5_.has_recursion, 0
	.set _ZN2at6native12_GLOBAL__N_130MultiMarginLoss_forward_kernelILi2EN3c108BFloat16EEEvPT0_PKS5_PKlS8_iibS5_.has_indirect_call, 0
	.section	.AMDGPU.csdata,"",@progbits
; Kernel info:
; codeLenInByte = 1116
; TotalNumSgprs: 23
; NumVgprs: 10
; ScratchSize: 0
; MemoryBound: 0
; FloatMode: 240
; IeeeMode: 1
; LDSByteSize: 512 bytes/workgroup (compile time only)
; SGPRBlocks: 0
; VGPRBlocks: 0
; NumSGPRsForWavesPerEU: 23
; NumVGPRsForWavesPerEU: 10
; NamedBarCnt: 0
; Occupancy: 16
; WaveLimiterHint : 1
; COMPUTE_PGM_RSRC2:SCRATCH_EN: 0
; COMPUTE_PGM_RSRC2:USER_SGPR: 2
; COMPUTE_PGM_RSRC2:TRAP_HANDLER: 0
; COMPUTE_PGM_RSRC2:TGID_X_EN: 1
; COMPUTE_PGM_RSRC2:TGID_Y_EN: 0
; COMPUTE_PGM_RSRC2:TGID_Z_EN: 0
; COMPUTE_PGM_RSRC2:TIDIG_COMP_CNT: 0
	.section	.text._ZN2at6native12_GLOBAL__N_131MultiMarginLoss_backward_kernelILi1EdEEvPT0_PKS3_S6_PKlS6_iibS3_b,"axG",@progbits,_ZN2at6native12_GLOBAL__N_131MultiMarginLoss_backward_kernelILi1EdEEvPT0_PKS3_S6_PKlS6_iibS3_b,comdat
	.globl	_ZN2at6native12_GLOBAL__N_131MultiMarginLoss_backward_kernelILi1EdEEvPT0_PKS3_S6_PKlS6_iibS3_b ; -- Begin function _ZN2at6native12_GLOBAL__N_131MultiMarginLoss_backward_kernelILi1EdEEvPT0_PKS3_S6_PKlS6_iibS3_b
	.p2align	8
	.type	_ZN2at6native12_GLOBAL__N_131MultiMarginLoss_backward_kernelILi1EdEEvPT0_PKS3_S6_PKlS6_iibS3_b,@function
_ZN2at6native12_GLOBAL__N_131MultiMarginLoss_backward_kernelILi1EdEEvPT0_PKS3_S6_PKlS6_iibS3_b: ; @_ZN2at6native12_GLOBAL__N_131MultiMarginLoss_backward_kernelILi1EdEEvPT0_PKS3_S6_PKlS6_iibS3_b
; %bb.0:
	s_clause 0x2
	s_load_b32 s2, s[0:1], 0x40
	s_load_b256 s[4:11], s[0:1], 0x0
	s_load_b32 s24, s[0:1], 0x54
	s_getreg_b32 s13, hwreg(HW_REG_IB_STS2, 6, 4)
	v_mov_b64_e32 v[4:5], 0
	v_lshlrev_b32_e32 v2, 3, v0
	s_mov_b32 s15, 0
	s_wait_kmcnt 0x0
	s_bitcmp1_b32 s2, 0
	s_cselect_b32 s3, -1, 0
	s_bfe_u32 s2, ttmp6, 0x4000c
	s_and_b32 s12, ttmp6, 15
	s_add_co_i32 s2, s2, 1
	s_delay_alu instid0(SALU_CYCLE_1) | instskip(NEXT) | instid1(SALU_CYCLE_1)
	s_mul_i32 s2, ttmp9, s2
	s_add_co_i32 s12, s12, s2
	s_cmp_eq_u32 s13, 0
	s_cselect_b32 s16, ttmp9, s12
	s_load_b96 s[12:14], s[0:1], 0x28
	s_ashr_i32 s17, s16, 31
	s_delay_alu instid0(SALU_CYCLE_1) | instskip(NEXT) | instid1(SALU_CYCLE_1)
	s_lshl_b64 s[18:19], s[16:17], 3
	s_add_nc_u64 s[10:11], s[10:11], s[18:19]
	s_load_b64 s[20:21], s[10:11], 0x0
	s_load_b64 s[22:23], s[0:1], 0x20
	ds_store_b64 v2, v[4:5]
	s_wait_kmcnt 0x0
	v_cmp_gt_i32_e64 s2, s13, v0
	s_mul_i32 s10, s13, s16
	s_delay_alu instid0(SALU_CYCLE_1)
	s_ashr_i32 s11, s10, 31
	s_bfe_i64 s[18:19], s[20:21], 0x200000
	s_and_b32 s21, s24, 0xffff
	s_and_saveexec_b32 s24, s2
	s_cbranch_execz .LBB8_9
; %bb.1:
	s_bitcmp1_b32 s14, 0
	v_mov_b32_e32 v1, v0
	s_cselect_b32 s14, -1, 0
	s_lshl_b64 s[26:27], s[10:11], 3
	s_and_b32 s14, s14, s3
	s_lshl_b64 s[28:29], s[18:19], 3
	s_and_b32 s14, s14, exec_lo
	s_cselect_b32 s12, s12, 1
	s_add_nc_u64 s[30:31], s[8:9], s[26:27]
	s_mul_i32 s12, s12, s13
	s_add_nc_u64 s[30:31], s[30:31], s[28:29]
	v_cvt_f64_i32_e32 v[6:7], s12
	s_load_b64 s[34:35], s[0:1], 0x38
	s_load_b64 s[36:37], s[30:31], 0x0
	s_cmp_lg_u64 s[22:23], 0
	s_wait_xcnt 0x0
	s_add_nc_u64 s[0:1], s[22:23], s[28:29]
	s_cselect_b32 s12, -1, 0
	s_lshl_b32 s14, s21, 3
	s_mov_b32 s22, s15
	v_mov_b32_e32 v3, 0
	s_delay_alu instid0(VALU_DEP_2) | instskip(SKIP_1) | instid1(VALU_DEP_2)
	v_div_scale_f64 v[8:9], null, v[6:7], v[6:7], 1.0
	v_div_scale_f64 v[14:15], vcc_lo, 1.0, v[6:7], 1.0
	v_rcp_f64_e32 v[10:11], v[8:9]
	v_nop
	s_delay_alu instid0(TRANS32_DEP_1) | instskip(NEXT) | instid1(VALU_DEP_1)
	v_fma_f64 v[12:13], -v[8:9], v[10:11], 1.0
	v_fmac_f64_e32 v[10:11], v[10:11], v[12:13]
	s_delay_alu instid0(VALU_DEP_1) | instskip(NEXT) | instid1(VALU_DEP_1)
	v_fma_f64 v[12:13], -v[8:9], v[10:11], 1.0
	v_fmac_f64_e32 v[10:11], v[10:11], v[12:13]
	s_delay_alu instid0(VALU_DEP_1) | instskip(NEXT) | instid1(VALU_DEP_1)
	v_mul_f64_e32 v[12:13], v[14:15], v[10:11]
	v_fma_f64 v[8:9], -v[8:9], v[12:13], v[14:15]
	s_delay_alu instid0(VALU_DEP_1) | instskip(SKIP_1) | instid1(VALU_DEP_2)
	v_div_fmas_f64 v[8:9], v[8:9], v[10:11], v[12:13]
	v_add_nc_u64_e32 v[10:11], s[26:27], v[2:3]
	v_div_fixup_f64 v[6:7], v[8:9], v[6:7], 1.0
	s_wait_kmcnt 0x0
	v_add_f64_e64 v[8:9], s[34:35], -s[36:37]
	s_branch .LBB8_5
.LBB8_2:                                ;   in Loop: Header=BB8_5 Depth=1
	s_delay_alu instid0(VALU_DEP_1)
	v_add_f64_e64 v[4:5], v[4:5], -v[12:13]
	ds_store_b64 v2, v[4:5]
.LBB8_3:                                ;   in Loop: Header=BB8_5 Depth=1
	s_wait_xcnt 0x0
	s_or_b32 exec_lo, exec_lo, s25
	v_add_nc_u64_e32 v[14:15], s[4:5], v[10:11]
	global_store_b64 v[14:15], v[12:13], off
.LBB8_4:                                ;   in Loop: Header=BB8_5 Depth=1
	s_wait_xcnt 0x0
	s_or_b32 exec_lo, exec_lo, s23
	v_add_nc_u32_e32 v1, s21, v1
	v_add_nc_u64_e32 v[10:11], s[14:15], v[10:11]
	s_delay_alu instid0(VALU_DEP_2) | instskip(SKIP_1) | instid1(SALU_CYCLE_1)
	v_cmp_le_i32_e32 vcc_lo, s13, v1
	s_or_b32 s22, vcc_lo, s22
	s_and_not1_b32 exec_lo, exec_lo, s22
	s_cbranch_execz .LBB8_9
.LBB8_5:                                ; =>This Inner Loop Header: Depth=1
	s_mov_b32 s23, exec_lo
	v_cmpx_ne_u32_e64 s20, v1
	s_cbranch_execz .LBB8_4
; %bb.6:                                ;   in Loop: Header=BB8_5 Depth=1
	v_add_nc_u64_e32 v[12:13], s[8:9], v[10:11]
	global_load_b64 v[12:13], v[12:13], off
	s_wait_loadcnt 0x0
	s_wait_xcnt 0x0
	v_add_f64_e32 v[12:13], v[8:9], v[12:13]
	s_delay_alu instid0(VALU_DEP_1)
	v_cmp_lt_f64_e32 vcc_lo, 0, v[12:13]
	v_mov_b64_e32 v[12:13], 0
	s_and_saveexec_b32 s25, vcc_lo
	s_cbranch_execz .LBB8_3
; %bb.7:                                ;   in Loop: Header=BB8_5 Depth=1
	v_mov_b64_e32 v[12:13], v[6:7]
	s_and_not1_b32 vcc_lo, exec_lo, s12
	s_cbranch_vccnz .LBB8_2
; %bb.8:                                ;   in Loop: Header=BB8_5 Depth=1
	global_load_b64 v[12:13], v3, s[0:1]
	s_wait_loadcnt 0x0
	v_mul_f64_e32 v[12:13], v[6:7], v[12:13]
	s_branch .LBB8_2
.LBB8_9:
	s_or_b32 exec_lo, exec_lo, s24
	s_delay_alu instid0(SALU_CYCLE_1)
	s_mov_b32 s0, exec_lo
	s_wait_storecnt_dscnt 0x0
	s_barrier_signal -1
	s_barrier_wait -1
	v_cmpx_eq_u32_e32 0, v0
	s_cbranch_execz .LBB8_19
; %bb.10:
	v_mov_b64_e32 v[4:5], 0
	s_cmp_eq_u32 s21, 0
	s_cbranch_scc1 .LBB8_18
; %bb.11:
	s_cmp_lt_u32 s21, 8
	s_cbranch_scc1 .LBB8_15
; %bb.12:
	s_and_b32 s1, s21, 0xfff8
	s_mov_b32 s8, 0
	s_mov_b32 s9, 0
.LBB8_13:                               ; =>This Inner Loop Header: Depth=1
	v_mov_b32_e32 v1, s8
	s_add_co_i32 s9, s9, 8
	s_add_co_i32 s8, s8, 64
	s_cmp_eq_u32 s1, s9
	ds_load_b128 v[6:9], v1
	ds_load_b128 v[10:13], v1 offset:16
	s_wait_dscnt 0x1
	v_add_f64_e32 v[4:5], v[4:5], v[6:7]
	s_delay_alu instid0(VALU_DEP_1) | instskip(SKIP_1) | instid1(VALU_DEP_1)
	v_add_f64_e32 v[4:5], v[4:5], v[8:9]
	s_wait_dscnt 0x0
	v_add_f64_e32 v[4:5], v[4:5], v[10:11]
	s_delay_alu instid0(VALU_DEP_1) | instskip(SKIP_4) | instid1(VALU_DEP_1)
	v_add_f64_e32 v[12:13], v[4:5], v[12:13]
	ds_load_b128 v[4:7], v1 offset:32
	ds_load_b128 v[8:11], v1 offset:48
	s_wait_dscnt 0x1
	v_add_f64_e32 v[4:5], v[12:13], v[4:5]
	v_add_f64_e32 v[4:5], v[4:5], v[6:7]
	s_wait_dscnt 0x0
	s_delay_alu instid0(VALU_DEP_1) | instskip(NEXT) | instid1(VALU_DEP_1)
	v_add_f64_e32 v[4:5], v[4:5], v[8:9]
	v_add_f64_e32 v[4:5], v[4:5], v[10:11]
	s_cbranch_scc0 .LBB8_13
; %bb.14:
	s_and_b32 s8, s21, 7
	s_delay_alu instid0(SALU_CYCLE_1)
	s_cmp_eq_u32 s8, 0
	s_cbranch_scc0 .LBB8_16
	s_branch .LBB8_18
.LBB8_15:
	s_mov_b32 s1, 0
	s_and_b32 s8, s21, 7
	s_delay_alu instid0(SALU_CYCLE_1)
	s_cmp_eq_u32 s8, 0
	s_cbranch_scc1 .LBB8_18
.LBB8_16:
	s_lshl_b32 s1, s1, 3
.LBB8_17:                               ; =>This Inner Loop Header: Depth=1
	s_delay_alu instid0(SALU_CYCLE_1)
	v_mov_b32_e32 v1, s1
	s_add_co_i32 s8, s8, -1
	s_add_co_i32 s1, s1, 8
	s_cmp_lg_u32 s8, 0
	ds_load_b64 v[6:7], v1
	s_wait_dscnt 0x0
	v_add_f64_e32 v[4:5], v[4:5], v[6:7]
	s_cbranch_scc1 .LBB8_17
.LBB8_18:
	s_lshl_b64 s[8:9], s[10:11], 3
	v_mov_b32_e32 v1, 0
	s_add_nc_u64 s[8:9], s[4:5], s[8:9]
	s_lshl_b64 s[14:15], s[18:19], 3
	s_delay_alu instid0(SALU_CYCLE_1)
	s_add_nc_u64 s[8:9], s[8:9], s[14:15]
	global_store_b64 v1, v[4:5], s[8:9]
.LBB8_19:
	s_wait_xcnt 0x0
	s_or_b32 exec_lo, exec_lo, s0
	s_wait_storecnt 0x0
	s_barrier_signal -1
	s_barrier_wait -1
	s_and_saveexec_b32 s0, s2
	s_cbranch_execz .LBB8_22
; %bb.20:
	s_and_b32 s0, s3, exec_lo
	v_mov_b32_e32 v3, 0
	s_cselect_b32 s1, 0, s17
	s_cselect_b32 s0, 0, s16
	s_lshl_b64 s[2:3], s[10:11], 3
	s_delay_alu instid0(SALU_CYCLE_1) | instskip(NEXT) | instid1(SALU_CYCLE_1)
	s_add_nc_u64 s[2:3], s[4:5], s[2:3]
	v_add_nc_u64_e32 v[4:5], s[2:3], v[2:3]
	s_lshl_b64 s[2:3], s[0:1], 3
	s_mov_b32 s1, 0
	s_add_nc_u64 s[2:3], s[6:7], s[2:3]
	s_lshl_b32 s0, s21, 3
	s_mov_b32 s4, s1
.LBB8_21:                               ; =>This Inner Loop Header: Depth=1
	global_load_b64 v[6:7], v3, s[2:3]
	global_load_b64 v[8:9], v[4:5], off
	v_add_nc_u32_e32 v0, s21, v0
	s_delay_alu instid0(VALU_DEP_1)
	v_cmp_le_i32_e32 vcc_lo, s13, v0
	s_or_b32 s4, vcc_lo, s4
	s_wait_loadcnt 0x0
	v_mul_f64_e32 v[6:7], v[6:7], v[8:9]
	global_store_b64 v[4:5], v[6:7], off
	s_wait_xcnt 0x0
	v_add_nc_u64_e32 v[4:5], s[0:1], v[4:5]
	s_and_not1_b32 exec_lo, exec_lo, s4
	s_cbranch_execnz .LBB8_21
.LBB8_22:
	s_endpgm
	.section	.rodata,"a",@progbits
	.p2align	6, 0x0
	.amdhsa_kernel _ZN2at6native12_GLOBAL__N_131MultiMarginLoss_backward_kernelILi1EdEEvPT0_PKS3_S6_PKlS6_iibS3_b
		.amdhsa_group_segment_fixed_size 1024
		.amdhsa_private_segment_fixed_size 0
		.amdhsa_kernarg_size 328
		.amdhsa_user_sgpr_count 2
		.amdhsa_user_sgpr_dispatch_ptr 0
		.amdhsa_user_sgpr_queue_ptr 0
		.amdhsa_user_sgpr_kernarg_segment_ptr 1
		.amdhsa_user_sgpr_dispatch_id 0
		.amdhsa_user_sgpr_kernarg_preload_length 0
		.amdhsa_user_sgpr_kernarg_preload_offset 0
		.amdhsa_user_sgpr_private_segment_size 0
		.amdhsa_wavefront_size32 1
		.amdhsa_uses_dynamic_stack 0
		.amdhsa_enable_private_segment 0
		.amdhsa_system_sgpr_workgroup_id_x 1
		.amdhsa_system_sgpr_workgroup_id_y 0
		.amdhsa_system_sgpr_workgroup_id_z 0
		.amdhsa_system_sgpr_workgroup_info 0
		.amdhsa_system_vgpr_workitem_id 0
		.amdhsa_next_free_vgpr 16
		.amdhsa_next_free_sgpr 38
		.amdhsa_named_barrier_count 0
		.amdhsa_reserve_vcc 1
		.amdhsa_float_round_mode_32 0
		.amdhsa_float_round_mode_16_64 0
		.amdhsa_float_denorm_mode_32 3
		.amdhsa_float_denorm_mode_16_64 3
		.amdhsa_fp16_overflow 0
		.amdhsa_memory_ordered 1
		.amdhsa_forward_progress 1
		.amdhsa_inst_pref_size 9
		.amdhsa_round_robin_scheduling 0
		.amdhsa_exception_fp_ieee_invalid_op 0
		.amdhsa_exception_fp_denorm_src 0
		.amdhsa_exception_fp_ieee_div_zero 0
		.amdhsa_exception_fp_ieee_overflow 0
		.amdhsa_exception_fp_ieee_underflow 0
		.amdhsa_exception_fp_ieee_inexact 0
		.amdhsa_exception_int_div_zero 0
	.end_amdhsa_kernel
	.section	.text._ZN2at6native12_GLOBAL__N_131MultiMarginLoss_backward_kernelILi1EdEEvPT0_PKS3_S6_PKlS6_iibS3_b,"axG",@progbits,_ZN2at6native12_GLOBAL__N_131MultiMarginLoss_backward_kernelILi1EdEEvPT0_PKS3_S6_PKlS6_iibS3_b,comdat
.Lfunc_end8:
	.size	_ZN2at6native12_GLOBAL__N_131MultiMarginLoss_backward_kernelILi1EdEEvPT0_PKS3_S6_PKlS6_iibS3_b, .Lfunc_end8-_ZN2at6native12_GLOBAL__N_131MultiMarginLoss_backward_kernelILi1EdEEvPT0_PKS3_S6_PKlS6_iibS3_b
                                        ; -- End function
	.set _ZN2at6native12_GLOBAL__N_131MultiMarginLoss_backward_kernelILi1EdEEvPT0_PKS3_S6_PKlS6_iibS3_b.num_vgpr, 16
	.set _ZN2at6native12_GLOBAL__N_131MultiMarginLoss_backward_kernelILi1EdEEvPT0_PKS3_S6_PKlS6_iibS3_b.num_agpr, 0
	.set _ZN2at6native12_GLOBAL__N_131MultiMarginLoss_backward_kernelILi1EdEEvPT0_PKS3_S6_PKlS6_iibS3_b.numbered_sgpr, 38
	.set _ZN2at6native12_GLOBAL__N_131MultiMarginLoss_backward_kernelILi1EdEEvPT0_PKS3_S6_PKlS6_iibS3_b.num_named_barrier, 0
	.set _ZN2at6native12_GLOBAL__N_131MultiMarginLoss_backward_kernelILi1EdEEvPT0_PKS3_S6_PKlS6_iibS3_b.private_seg_size, 0
	.set _ZN2at6native12_GLOBAL__N_131MultiMarginLoss_backward_kernelILi1EdEEvPT0_PKS3_S6_PKlS6_iibS3_b.uses_vcc, 1
	.set _ZN2at6native12_GLOBAL__N_131MultiMarginLoss_backward_kernelILi1EdEEvPT0_PKS3_S6_PKlS6_iibS3_b.uses_flat_scratch, 0
	.set _ZN2at6native12_GLOBAL__N_131MultiMarginLoss_backward_kernelILi1EdEEvPT0_PKS3_S6_PKlS6_iibS3_b.has_dyn_sized_stack, 0
	.set _ZN2at6native12_GLOBAL__N_131MultiMarginLoss_backward_kernelILi1EdEEvPT0_PKS3_S6_PKlS6_iibS3_b.has_recursion, 0
	.set _ZN2at6native12_GLOBAL__N_131MultiMarginLoss_backward_kernelILi1EdEEvPT0_PKS3_S6_PKlS6_iibS3_b.has_indirect_call, 0
	.section	.AMDGPU.csdata,"",@progbits
; Kernel info:
; codeLenInByte = 1036
; TotalNumSgprs: 40
; NumVgprs: 16
; ScratchSize: 0
; MemoryBound: 1
; FloatMode: 240
; IeeeMode: 1
; LDSByteSize: 1024 bytes/workgroup (compile time only)
; SGPRBlocks: 0
; VGPRBlocks: 0
; NumSGPRsForWavesPerEU: 40
; NumVGPRsForWavesPerEU: 16
; NamedBarCnt: 0
; Occupancy: 16
; WaveLimiterHint : 1
; COMPUTE_PGM_RSRC2:SCRATCH_EN: 0
; COMPUTE_PGM_RSRC2:USER_SGPR: 2
; COMPUTE_PGM_RSRC2:TRAP_HANDLER: 0
; COMPUTE_PGM_RSRC2:TGID_X_EN: 1
; COMPUTE_PGM_RSRC2:TGID_Y_EN: 0
; COMPUTE_PGM_RSRC2:TGID_Z_EN: 0
; COMPUTE_PGM_RSRC2:TIDIG_COMP_CNT: 0
	.section	.text._ZN2at6native12_GLOBAL__N_131MultiMarginLoss_backward_kernelILi2EdEEvPT0_PKS3_S6_PKlS6_iibS3_b,"axG",@progbits,_ZN2at6native12_GLOBAL__N_131MultiMarginLoss_backward_kernelILi2EdEEvPT0_PKS3_S6_PKlS6_iibS3_b,comdat
	.globl	_ZN2at6native12_GLOBAL__N_131MultiMarginLoss_backward_kernelILi2EdEEvPT0_PKS3_S6_PKlS6_iibS3_b ; -- Begin function _ZN2at6native12_GLOBAL__N_131MultiMarginLoss_backward_kernelILi2EdEEvPT0_PKS3_S6_PKlS6_iibS3_b
	.p2align	8
	.type	_ZN2at6native12_GLOBAL__N_131MultiMarginLoss_backward_kernelILi2EdEEvPT0_PKS3_S6_PKlS6_iibS3_b,@function
_ZN2at6native12_GLOBAL__N_131MultiMarginLoss_backward_kernelILi2EdEEvPT0_PKS3_S6_PKlS6_iibS3_b: ; @_ZN2at6native12_GLOBAL__N_131MultiMarginLoss_backward_kernelILi2EdEEvPT0_PKS3_S6_PKlS6_iibS3_b
; %bb.0:
	s_clause 0x2
	s_load_b32 s2, s[0:1], 0x40
	s_load_b256 s[4:11], s[0:1], 0x0
	s_load_b32 s24, s[0:1], 0x54
	s_getreg_b32 s13, hwreg(HW_REG_IB_STS2, 6, 4)
	v_mov_b64_e32 v[4:5], 0
	v_lshlrev_b32_e32 v2, 3, v0
	s_mov_b32 s15, 0
	s_wait_kmcnt 0x0
	s_bitcmp1_b32 s2, 0
	s_cselect_b32 s3, -1, 0
	s_bfe_u32 s2, ttmp6, 0x4000c
	s_and_b32 s12, ttmp6, 15
	s_add_co_i32 s2, s2, 1
	s_delay_alu instid0(SALU_CYCLE_1) | instskip(NEXT) | instid1(SALU_CYCLE_1)
	s_mul_i32 s2, ttmp9, s2
	s_add_co_i32 s12, s12, s2
	s_cmp_eq_u32 s13, 0
	s_cselect_b32 s16, ttmp9, s12
	s_load_b96 s[12:14], s[0:1], 0x28
	s_ashr_i32 s17, s16, 31
	s_delay_alu instid0(SALU_CYCLE_1) | instskip(NEXT) | instid1(SALU_CYCLE_1)
	s_lshl_b64 s[18:19], s[16:17], 3
	s_add_nc_u64 s[10:11], s[10:11], s[18:19]
	s_load_b64 s[20:21], s[10:11], 0x0
	s_load_b64 s[22:23], s[0:1], 0x20
	ds_store_b64 v2, v[4:5]
	s_wait_kmcnt 0x0
	v_cmp_gt_i32_e64 s2, s13, v0
	s_mul_i32 s10, s13, s16
	s_delay_alu instid0(SALU_CYCLE_1)
	s_ashr_i32 s11, s10, 31
	s_bfe_i64 s[18:19], s[20:21], 0x200000
	s_and_b32 s21, s24, 0xffff
	s_and_saveexec_b32 s24, s2
	s_cbranch_execz .LBB9_9
; %bb.1:
	s_bitcmp1_b32 s14, 0
	v_mov_b32_e32 v1, v0
	s_cselect_b32 s14, -1, 0
	s_lshl_b64 s[26:27], s[10:11], 3
	s_and_b32 s14, s14, s3
	s_lshl_b64 s[28:29], s[18:19], 3
	s_and_b32 s14, s14, exec_lo
	s_cselect_b32 s12, s12, 1
	s_add_nc_u64 s[30:31], s[8:9], s[26:27]
	s_mul_i32 s12, s12, s13
	s_add_nc_u64 s[30:31], s[30:31], s[28:29]
	v_cvt_f64_i32_e32 v[6:7], s12
	s_load_b64 s[34:35], s[0:1], 0x38
	s_load_b64 s[36:37], s[30:31], 0x0
	s_cmp_lg_u64 s[22:23], 0
	s_wait_xcnt 0x0
	s_add_nc_u64 s[0:1], s[22:23], s[28:29]
	s_cselect_b32 s12, -1, 0
	s_lshl_b32 s14, s21, 3
	s_mov_b32 s22, s15
	v_mov_b32_e32 v3, 0
	s_delay_alu instid0(VALU_DEP_2) | instskip(NEXT) | instid1(VALU_DEP_1)
	v_div_scale_f64 v[8:9], null, v[6:7], v[6:7], 1.0
	v_rcp_f64_e32 v[10:11], v[8:9]
	v_nop
	s_delay_alu instid0(TRANS32_DEP_1) | instskip(NEXT) | instid1(VALU_DEP_1)
	v_fma_f64 v[12:13], -v[8:9], v[10:11], 1.0
	v_fmac_f64_e32 v[10:11], v[10:11], v[12:13]
	s_delay_alu instid0(VALU_DEP_1) | instskip(NEXT) | instid1(VALU_DEP_1)
	v_fma_f64 v[12:13], -v[8:9], v[10:11], 1.0
	v_fmac_f64_e32 v[10:11], v[10:11], v[12:13]
	v_div_scale_f64 v[12:13], vcc_lo, 1.0, v[6:7], 1.0
	s_delay_alu instid0(VALU_DEP_1) | instskip(NEXT) | instid1(VALU_DEP_1)
	v_mul_f64_e32 v[14:15], v[12:13], v[10:11]
	v_fma_f64 v[8:9], -v[8:9], v[14:15], v[12:13]
	s_delay_alu instid0(VALU_DEP_1) | instskip(SKIP_1) | instid1(VALU_DEP_2)
	v_div_fmas_f64 v[8:9], v[8:9], v[10:11], v[14:15]
	v_add_nc_u64_e32 v[10:11], s[26:27], v[2:3]
	v_div_fixup_f64 v[8:9], v[8:9], v[6:7], 1.0
	s_wait_kmcnt 0x0
	v_add_f64_e64 v[6:7], s[34:35], -s[36:37]
	s_delay_alu instid0(VALU_DEP_2)
	v_add_f64_e32 v[8:9], v[8:9], v[8:9]
	s_branch .LBB9_5
.LBB9_2:                                ;   in Loop: Header=BB9_5 Depth=1
	s_delay_alu instid0(VALU_DEP_1)
	v_add_f64_e64 v[4:5], v[4:5], -v[12:13]
	ds_store_b64 v2, v[4:5]
.LBB9_3:                                ;   in Loop: Header=BB9_5 Depth=1
	s_wait_xcnt 0x0
	s_or_b32 exec_lo, exec_lo, s25
	v_add_nc_u64_e32 v[14:15], s[4:5], v[10:11]
	global_store_b64 v[14:15], v[12:13], off
.LBB9_4:                                ;   in Loop: Header=BB9_5 Depth=1
	s_wait_xcnt 0x0
	s_or_b32 exec_lo, exec_lo, s23
	v_add_nc_u32_e32 v1, s21, v1
	v_add_nc_u64_e32 v[10:11], s[14:15], v[10:11]
	s_delay_alu instid0(VALU_DEP_2) | instskip(SKIP_1) | instid1(SALU_CYCLE_1)
	v_cmp_le_i32_e32 vcc_lo, s13, v1
	s_or_b32 s22, vcc_lo, s22
	s_and_not1_b32 exec_lo, exec_lo, s22
	s_cbranch_execz .LBB9_9
.LBB9_5:                                ; =>This Inner Loop Header: Depth=1
	s_mov_b32 s23, exec_lo
	v_cmpx_ne_u32_e64 s20, v1
	s_cbranch_execz .LBB9_4
; %bb.6:                                ;   in Loop: Header=BB9_5 Depth=1
	v_add_nc_u64_e32 v[12:13], s[8:9], v[10:11]
	s_mov_b32 s25, exec_lo
	global_load_b64 v[12:13], v[12:13], off
	s_wait_loadcnt 0x0
	v_add_f64_e32 v[14:15], v[6:7], v[12:13]
	s_wait_xcnt 0x0
	v_mov_b64_e32 v[12:13], 0
	s_delay_alu instid0(VALU_DEP_2)
	v_cmpx_lt_f64_e32 0, v[14:15]
	s_cbranch_execz .LBB9_3
; %bb.7:                                ;   in Loop: Header=BB9_5 Depth=1
	v_mul_f64_e32 v[12:13], v[8:9], v[14:15]
	s_and_not1_b32 vcc_lo, exec_lo, s12
	s_cbranch_vccnz .LBB9_2
; %bb.8:                                ;   in Loop: Header=BB9_5 Depth=1
	global_load_b64 v[14:15], v3, s[0:1]
	s_wait_loadcnt 0x0
	v_mul_f64_e32 v[12:13], v[12:13], v[14:15]
	s_branch .LBB9_2
.LBB9_9:
	s_or_b32 exec_lo, exec_lo, s24
	s_delay_alu instid0(SALU_CYCLE_1)
	s_mov_b32 s0, exec_lo
	s_wait_storecnt_dscnt 0x0
	s_barrier_signal -1
	s_barrier_wait -1
	v_cmpx_eq_u32_e32 0, v0
	s_cbranch_execz .LBB9_19
; %bb.10:
	v_mov_b64_e32 v[4:5], 0
	s_cmp_eq_u32 s21, 0
	s_cbranch_scc1 .LBB9_18
; %bb.11:
	s_cmp_lt_u32 s21, 8
	s_cbranch_scc1 .LBB9_15
; %bb.12:
	s_and_b32 s1, s21, 0xfff8
	s_mov_b32 s8, 0
	s_mov_b32 s9, 0
.LBB9_13:                               ; =>This Inner Loop Header: Depth=1
	v_mov_b32_e32 v1, s8
	s_add_co_i32 s9, s9, 8
	s_add_co_i32 s8, s8, 64
	s_cmp_eq_u32 s1, s9
	ds_load_b128 v[6:9], v1
	ds_load_b128 v[10:13], v1 offset:16
	s_wait_dscnt 0x1
	v_add_f64_e32 v[4:5], v[4:5], v[6:7]
	s_delay_alu instid0(VALU_DEP_1) | instskip(SKIP_1) | instid1(VALU_DEP_1)
	v_add_f64_e32 v[4:5], v[4:5], v[8:9]
	s_wait_dscnt 0x0
	v_add_f64_e32 v[4:5], v[4:5], v[10:11]
	s_delay_alu instid0(VALU_DEP_1) | instskip(SKIP_4) | instid1(VALU_DEP_1)
	v_add_f64_e32 v[12:13], v[4:5], v[12:13]
	ds_load_b128 v[4:7], v1 offset:32
	ds_load_b128 v[8:11], v1 offset:48
	s_wait_dscnt 0x1
	v_add_f64_e32 v[4:5], v[12:13], v[4:5]
	v_add_f64_e32 v[4:5], v[4:5], v[6:7]
	s_wait_dscnt 0x0
	s_delay_alu instid0(VALU_DEP_1) | instskip(NEXT) | instid1(VALU_DEP_1)
	v_add_f64_e32 v[4:5], v[4:5], v[8:9]
	v_add_f64_e32 v[4:5], v[4:5], v[10:11]
	s_cbranch_scc0 .LBB9_13
; %bb.14:
	s_and_b32 s8, s21, 7
	s_delay_alu instid0(SALU_CYCLE_1)
	s_cmp_eq_u32 s8, 0
	s_cbranch_scc0 .LBB9_16
	s_branch .LBB9_18
.LBB9_15:
	s_mov_b32 s1, 0
	s_and_b32 s8, s21, 7
	s_delay_alu instid0(SALU_CYCLE_1)
	s_cmp_eq_u32 s8, 0
	s_cbranch_scc1 .LBB9_18
.LBB9_16:
	s_lshl_b32 s1, s1, 3
.LBB9_17:                               ; =>This Inner Loop Header: Depth=1
	s_delay_alu instid0(SALU_CYCLE_1)
	v_mov_b32_e32 v1, s1
	s_add_co_i32 s8, s8, -1
	s_add_co_i32 s1, s1, 8
	s_cmp_lg_u32 s8, 0
	ds_load_b64 v[6:7], v1
	s_wait_dscnt 0x0
	v_add_f64_e32 v[4:5], v[4:5], v[6:7]
	s_cbranch_scc1 .LBB9_17
.LBB9_18:
	s_lshl_b64 s[8:9], s[10:11], 3
	v_mov_b32_e32 v1, 0
	s_add_nc_u64 s[8:9], s[4:5], s[8:9]
	s_lshl_b64 s[14:15], s[18:19], 3
	s_delay_alu instid0(SALU_CYCLE_1)
	s_add_nc_u64 s[8:9], s[8:9], s[14:15]
	global_store_b64 v1, v[4:5], s[8:9]
.LBB9_19:
	s_wait_xcnt 0x0
	s_or_b32 exec_lo, exec_lo, s0
	s_wait_storecnt 0x0
	s_barrier_signal -1
	s_barrier_wait -1
	s_and_saveexec_b32 s0, s2
	s_cbranch_execz .LBB9_22
; %bb.20:
	s_and_b32 s0, s3, exec_lo
	v_mov_b32_e32 v3, 0
	s_cselect_b32 s1, 0, s17
	s_cselect_b32 s0, 0, s16
	s_lshl_b64 s[2:3], s[10:11], 3
	s_delay_alu instid0(SALU_CYCLE_1) | instskip(NEXT) | instid1(SALU_CYCLE_1)
	s_add_nc_u64 s[2:3], s[4:5], s[2:3]
	v_add_nc_u64_e32 v[4:5], s[2:3], v[2:3]
	s_lshl_b64 s[2:3], s[0:1], 3
	s_mov_b32 s1, 0
	s_add_nc_u64 s[2:3], s[6:7], s[2:3]
	s_lshl_b32 s0, s21, 3
	s_mov_b32 s4, s1
.LBB9_21:                               ; =>This Inner Loop Header: Depth=1
	global_load_b64 v[6:7], v3, s[2:3]
	global_load_b64 v[8:9], v[4:5], off
	v_add_nc_u32_e32 v0, s21, v0
	s_delay_alu instid0(VALU_DEP_1)
	v_cmp_le_i32_e32 vcc_lo, s13, v0
	s_or_b32 s4, vcc_lo, s4
	s_wait_loadcnt 0x0
	v_mul_f64_e32 v[6:7], v[6:7], v[8:9]
	global_store_b64 v[4:5], v[6:7], off
	s_wait_xcnt 0x0
	v_add_nc_u64_e32 v[4:5], s[0:1], v[4:5]
	s_and_not1_b32 exec_lo, exec_lo, s4
	s_cbranch_execnz .LBB9_21
.LBB9_22:
	s_endpgm
	.section	.rodata,"a",@progbits
	.p2align	6, 0x0
	.amdhsa_kernel _ZN2at6native12_GLOBAL__N_131MultiMarginLoss_backward_kernelILi2EdEEvPT0_PKS3_S6_PKlS6_iibS3_b
		.amdhsa_group_segment_fixed_size 1024
		.amdhsa_private_segment_fixed_size 0
		.amdhsa_kernarg_size 328
		.amdhsa_user_sgpr_count 2
		.amdhsa_user_sgpr_dispatch_ptr 0
		.amdhsa_user_sgpr_queue_ptr 0
		.amdhsa_user_sgpr_kernarg_segment_ptr 1
		.amdhsa_user_sgpr_dispatch_id 0
		.amdhsa_user_sgpr_kernarg_preload_length 0
		.amdhsa_user_sgpr_kernarg_preload_offset 0
		.amdhsa_user_sgpr_private_segment_size 0
		.amdhsa_wavefront_size32 1
		.amdhsa_uses_dynamic_stack 0
		.amdhsa_enable_private_segment 0
		.amdhsa_system_sgpr_workgroup_id_x 1
		.amdhsa_system_sgpr_workgroup_id_y 0
		.amdhsa_system_sgpr_workgroup_id_z 0
		.amdhsa_system_sgpr_workgroup_info 0
		.amdhsa_system_vgpr_workitem_id 0
		.amdhsa_next_free_vgpr 16
		.amdhsa_next_free_sgpr 38
		.amdhsa_named_barrier_count 0
		.amdhsa_reserve_vcc 1
		.amdhsa_float_round_mode_32 0
		.amdhsa_float_round_mode_16_64 0
		.amdhsa_float_denorm_mode_32 3
		.amdhsa_float_denorm_mode_16_64 3
		.amdhsa_fp16_overflow 0
		.amdhsa_memory_ordered 1
		.amdhsa_forward_progress 1
		.amdhsa_inst_pref_size 9
		.amdhsa_round_robin_scheduling 0
		.amdhsa_exception_fp_ieee_invalid_op 0
		.amdhsa_exception_fp_denorm_src 0
		.amdhsa_exception_fp_ieee_div_zero 0
		.amdhsa_exception_fp_ieee_overflow 0
		.amdhsa_exception_fp_ieee_underflow 0
		.amdhsa_exception_fp_ieee_inexact 0
		.amdhsa_exception_int_div_zero 0
	.end_amdhsa_kernel
	.section	.text._ZN2at6native12_GLOBAL__N_131MultiMarginLoss_backward_kernelILi2EdEEvPT0_PKS3_S6_PKlS6_iibS3_b,"axG",@progbits,_ZN2at6native12_GLOBAL__N_131MultiMarginLoss_backward_kernelILi2EdEEvPT0_PKS3_S6_PKlS6_iibS3_b,comdat
.Lfunc_end9:
	.size	_ZN2at6native12_GLOBAL__N_131MultiMarginLoss_backward_kernelILi2EdEEvPT0_PKS3_S6_PKlS6_iibS3_b, .Lfunc_end9-_ZN2at6native12_GLOBAL__N_131MultiMarginLoss_backward_kernelILi2EdEEvPT0_PKS3_S6_PKlS6_iibS3_b
                                        ; -- End function
	.set _ZN2at6native12_GLOBAL__N_131MultiMarginLoss_backward_kernelILi2EdEEvPT0_PKS3_S6_PKlS6_iibS3_b.num_vgpr, 16
	.set _ZN2at6native12_GLOBAL__N_131MultiMarginLoss_backward_kernelILi2EdEEvPT0_PKS3_S6_PKlS6_iibS3_b.num_agpr, 0
	.set _ZN2at6native12_GLOBAL__N_131MultiMarginLoss_backward_kernelILi2EdEEvPT0_PKS3_S6_PKlS6_iibS3_b.numbered_sgpr, 38
	.set _ZN2at6native12_GLOBAL__N_131MultiMarginLoss_backward_kernelILi2EdEEvPT0_PKS3_S6_PKlS6_iibS3_b.num_named_barrier, 0
	.set _ZN2at6native12_GLOBAL__N_131MultiMarginLoss_backward_kernelILi2EdEEvPT0_PKS3_S6_PKlS6_iibS3_b.private_seg_size, 0
	.set _ZN2at6native12_GLOBAL__N_131MultiMarginLoss_backward_kernelILi2EdEEvPT0_PKS3_S6_PKlS6_iibS3_b.uses_vcc, 1
	.set _ZN2at6native12_GLOBAL__N_131MultiMarginLoss_backward_kernelILi2EdEEvPT0_PKS3_S6_PKlS6_iibS3_b.uses_flat_scratch, 0
	.set _ZN2at6native12_GLOBAL__N_131MultiMarginLoss_backward_kernelILi2EdEEvPT0_PKS3_S6_PKlS6_iibS3_b.has_dyn_sized_stack, 0
	.set _ZN2at6native12_GLOBAL__N_131MultiMarginLoss_backward_kernelILi2EdEEvPT0_PKS3_S6_PKlS6_iibS3_b.has_recursion, 0
	.set _ZN2at6native12_GLOBAL__N_131MultiMarginLoss_backward_kernelILi2EdEEvPT0_PKS3_S6_PKlS6_iibS3_b.has_indirect_call, 0
	.section	.AMDGPU.csdata,"",@progbits
; Kernel info:
; codeLenInByte = 1044
; TotalNumSgprs: 40
; NumVgprs: 16
; ScratchSize: 0
; MemoryBound: 1
; FloatMode: 240
; IeeeMode: 1
; LDSByteSize: 1024 bytes/workgroup (compile time only)
; SGPRBlocks: 0
; VGPRBlocks: 0
; NumSGPRsForWavesPerEU: 40
; NumVGPRsForWavesPerEU: 16
; NamedBarCnt: 0
; Occupancy: 16
; WaveLimiterHint : 1
; COMPUTE_PGM_RSRC2:SCRATCH_EN: 0
; COMPUTE_PGM_RSRC2:USER_SGPR: 2
; COMPUTE_PGM_RSRC2:TRAP_HANDLER: 0
; COMPUTE_PGM_RSRC2:TGID_X_EN: 1
; COMPUTE_PGM_RSRC2:TGID_Y_EN: 0
; COMPUTE_PGM_RSRC2:TGID_Z_EN: 0
; COMPUTE_PGM_RSRC2:TIDIG_COMP_CNT: 0
	.section	.text._ZN2at6native12_GLOBAL__N_131MultiMarginLoss_backward_kernelILi1EfEEvPT0_PKS3_S6_PKlS6_iibS3_b,"axG",@progbits,_ZN2at6native12_GLOBAL__N_131MultiMarginLoss_backward_kernelILi1EfEEvPT0_PKS3_S6_PKlS6_iibS3_b,comdat
	.globl	_ZN2at6native12_GLOBAL__N_131MultiMarginLoss_backward_kernelILi1EfEEvPT0_PKS3_S6_PKlS6_iibS3_b ; -- Begin function _ZN2at6native12_GLOBAL__N_131MultiMarginLoss_backward_kernelILi1EfEEvPT0_PKS3_S6_PKlS6_iibS3_b
	.p2align	8
	.type	_ZN2at6native12_GLOBAL__N_131MultiMarginLoss_backward_kernelILi1EfEEvPT0_PKS3_S6_PKlS6_iibS3_b,@function
_ZN2at6native12_GLOBAL__N_131MultiMarginLoss_backward_kernelILi1EfEEvPT0_PKS3_S6_PKlS6_iibS3_b: ; @_ZN2at6native12_GLOBAL__N_131MultiMarginLoss_backward_kernelILi1EfEEvPT0_PKS3_S6_PKlS6_iibS3_b
; %bb.0:
	s_clause 0x2
	s_load_b32 s2, s[0:1], 0x38
	s_load_b256 s[4:11], s[0:1], 0x0
	s_load_b32 s20, s[0:1], 0x4c
	s_getreg_b32 s12, hwreg(HW_REG_IB_STS2, 6, 4)
	v_dual_mov_b32 v3, 0 :: v_dual_lshlrev_b32 v2, 2, v0
	s_mov_b32 s21, 0
	s_wait_kmcnt 0x0
	s_bitcmp1_b32 s2, 0
	s_cselect_b32 s24, -1, 0
	s_bfe_u32 s2, ttmp6, 0x4000c
	s_and_b32 s3, ttmp6, 15
	s_add_co_i32 s2, s2, 1
	s_delay_alu instid0(SALU_CYCLE_1) | instskip(NEXT) | instid1(SALU_CYCLE_1)
	s_mul_i32 s2, ttmp9, s2
	s_add_co_i32 s3, s3, s2
	s_cmp_eq_u32 s12, 0
	s_load_b128 s[12:15], s[0:1], 0x28
	s_cselect_b32 s2, ttmp9, s3
	s_delay_alu instid0(SALU_CYCLE_1) | instskip(NEXT) | instid1(SALU_CYCLE_1)
	s_ashr_i32 s3, s2, 31
	s_lshl_b64 s[16:17], s[2:3], 3
	s_delay_alu instid0(SALU_CYCLE_1)
	s_add_nc_u64 s[10:11], s[10:11], s[16:17]
	s_load_b64 s[18:19], s[10:11], 0x0
	s_load_b64 s[22:23], s[0:1], 0x20
	ds_store_b32 v2, v3
	s_wait_kmcnt 0x0
	v_cmp_gt_i32_e64 s0, s13, v0
	s_mul_i32 s10, s13, s2
	s_delay_alu instid0(SALU_CYCLE_1)
	s_ashr_i32 s11, s10, 31
	s_bfe_i64 s[16:17], s[18:19], 0x200000
	s_and_b32 s19, s20, 0xffff
	s_and_saveexec_b32 s1, s0
	s_cbranch_execz .LBB10_9
; %bb.1:
	s_bitcmp1_b32 s14, 0
	s_cselect_b32 s14, -1, 0
	s_lshl_b64 s[26:27], s[10:11], 2
	s_and_b32 s14, s14, s24
	s_lshl_b64 s[28:29], s[16:17], 2
	s_and_b32 s14, s14, exec_lo
	s_cselect_b32 s12, s12, 1
	s_add_nc_u64 s[30:31], s[8:9], s[26:27]
	s_mul_i32 s12, s12, s13
	s_add_nc_u64 s[30:31], s[30:31], s[28:29]
	s_cvt_f32_i32 s14, s12
	s_load_b32 s20, s[30:31], 0x0
	s_cmp_lg_u64 s[22:23], 0
	s_cselect_b32 s12, -1, 0
	v_div_scale_f32 v1, null, s14, s14, 1.0
	v_div_scale_f32 v6, vcc_lo, 1.0, s14, 1.0
	s_delay_alu instid0(VALU_DEP_2)
	v_rcp_f32_e32 v4, v1
	v_nop
	v_xor_b32_e32 v1, 0x80000000, v1
	s_delay_alu instid0(TRANS32_DEP_1) | instid1(VALU_DEP_1)
	v_fma_f32 v5, v1, v4, 1.0
	s_wait_kmcnt 0x0
	s_sub_f32 s25, s15, s20
	s_delay_alu instid0(VALU_DEP_1) | instskip(SKIP_1) | instid1(VALU_DEP_1)
	v_fmac_f32_e32 v4, v5, v4
	s_lshl_b32 s20, s19, 2
	v_mul_f32_e32 v5, v6, v4
	s_delay_alu instid0(VALU_DEP_1) | instskip(NEXT) | instid1(VALU_DEP_1)
	v_fma_f32 v7, v1, v5, v6
	v_dual_fmac_f32 v5, v7, v4 :: v_dual_mov_b32 v7, v0
	s_delay_alu instid0(VALU_DEP_1) | instskip(NEXT) | instid1(VALU_DEP_1)
	v_dual_fmac_f32 v6, v1, v5 :: v_dual_mov_b32 v1, 0
	v_div_fmas_f32 v6, v6, v4, v5
	v_add_nc_u64_e32 v[4:5], s[26:27], v[2:3]
	s_delay_alu instid0(VALU_DEP_2)
	v_div_fixup_f32 v6, v6, s14, 1.0
	s_add_nc_u64 s[14:15], s[22:23], s[28:29]
	s_mov_b32 s22, s21
	s_branch .LBB10_5
.LBB10_2:                               ;   in Loop: Header=BB10_5 Depth=1
	s_delay_alu instid0(VALU_DEP_1)
	v_sub_f32_e32 v1, v1, v8
	ds_store_b32 v2, v1
.LBB10_3:                               ;   in Loop: Header=BB10_5 Depth=1
	s_wait_xcnt 0x0
	s_or_b32 exec_lo, exec_lo, s26
	v_add_nc_u64_e32 v[10:11], s[4:5], v[4:5]
	global_store_b32 v[10:11], v8, off
.LBB10_4:                               ;   in Loop: Header=BB10_5 Depth=1
	s_wait_xcnt 0x0
	s_or_b32 exec_lo, exec_lo, s23
	v_add_nc_u32_e32 v7, s19, v7
	v_add_nc_u64_e32 v[4:5], s[20:21], v[4:5]
	s_delay_alu instid0(VALU_DEP_2) | instskip(SKIP_1) | instid1(SALU_CYCLE_1)
	v_cmp_le_i32_e32 vcc_lo, s13, v7
	s_or_b32 s22, vcc_lo, s22
	s_and_not1_b32 exec_lo, exec_lo, s22
	s_cbranch_execz .LBB10_9
.LBB10_5:                               ; =>This Inner Loop Header: Depth=1
	s_mov_b32 s23, exec_lo
	v_cmpx_ne_u32_e64 s18, v7
	s_cbranch_execz .LBB10_4
; %bb.6:                                ;   in Loop: Header=BB10_5 Depth=1
	v_add_nc_u64_e32 v[8:9], s[8:9], v[4:5]
	s_mov_b32 s26, exec_lo
	global_load_b32 v8, v[8:9], off
	s_wait_loadcnt 0x0
	s_wait_xcnt 0x0
	v_dual_add_f32 v9, s25, v8 :: v_dual_mov_b32 v8, 0
	s_delay_alu instid0(VALU_DEP_1)
	v_cmpx_lt_f32_e32 0, v9
	s_cbranch_execz .LBB10_3
; %bb.7:                                ;   in Loop: Header=BB10_5 Depth=1
	v_mov_b32_e32 v8, v6
	s_and_not1_b32 vcc_lo, exec_lo, s12
	s_cbranch_vccnz .LBB10_2
; %bb.8:                                ;   in Loop: Header=BB10_5 Depth=1
	global_load_b32 v8, v3, s[14:15]
	s_wait_loadcnt 0x0
	v_mul_f32_e32 v8, v6, v8
	s_branch .LBB10_2
.LBB10_9:
	s_or_b32 exec_lo, exec_lo, s1
	s_delay_alu instid0(SALU_CYCLE_1)
	s_mov_b32 s1, exec_lo
	s_wait_storecnt_dscnt 0x0
	s_barrier_signal -1
	s_barrier_wait -1
	v_cmpx_eq_u32_e32 0, v0
	s_cbranch_execz .LBB10_19
; %bb.10:
	v_mov_b32_e32 v1, 0
	s_cmp_eq_u32 s19, 0
	s_cbranch_scc1 .LBB10_18
; %bb.11:
	s_cmp_lt_u32 s19, 8
	s_cbranch_scc1 .LBB10_15
; %bb.12:
	s_and_b32 s8, s19, 0xfff8
	s_mov_b32 s9, 0
	s_mov_b32 s12, 0
.LBB10_13:                              ; =>This Inner Loop Header: Depth=1
	v_mov_b32_e32 v3, s9
	s_add_co_i32 s12, s12, 8
	s_add_co_i32 s9, s9, 32
	s_cmp_eq_u32 s8, s12
	ds_load_b128 v[4:7], v3
	ds_load_b128 v[8:11], v3 offset:16
	s_wait_dscnt 0x1
	v_add_f32_e32 v1, v1, v4
	s_delay_alu instid0(VALU_DEP_1) | instskip(NEXT) | instid1(VALU_DEP_1)
	v_add_f32_e32 v1, v1, v5
	v_add_f32_e32 v1, v1, v6
	s_delay_alu instid0(VALU_DEP_1) | instskip(SKIP_1) | instid1(VALU_DEP_1)
	v_add_f32_e32 v1, v1, v7
	s_wait_dscnt 0x0
	v_add_f32_e32 v1, v1, v8
	s_delay_alu instid0(VALU_DEP_1) | instskip(NEXT) | instid1(VALU_DEP_1)
	v_add_f32_e32 v1, v1, v9
	v_add_f32_e32 v1, v1, v10
	s_delay_alu instid0(VALU_DEP_1)
	v_add_f32_e32 v1, v1, v11
	s_cbranch_scc0 .LBB10_13
; %bb.14:
	s_and_b32 s9, s19, 7
	s_delay_alu instid0(SALU_CYCLE_1)
	s_cmp_eq_u32 s9, 0
	s_cbranch_scc0 .LBB10_16
	s_branch .LBB10_18
.LBB10_15:
	s_mov_b32 s8, 0
	s_and_b32 s9, s19, 7
	s_delay_alu instid0(SALU_CYCLE_1)
	s_cmp_eq_u32 s9, 0
	s_cbranch_scc1 .LBB10_18
.LBB10_16:
	s_lshl_b32 s8, s8, 2
.LBB10_17:                              ; =>This Inner Loop Header: Depth=1
	s_delay_alu instid0(SALU_CYCLE_1)
	v_mov_b32_e32 v3, s8
	s_add_co_i32 s9, s9, -1
	s_add_co_i32 s8, s8, 4
	s_cmp_lg_u32 s9, 0
	ds_load_b32 v3, v3
	s_wait_dscnt 0x0
	v_add_f32_e32 v1, v1, v3
	s_cbranch_scc1 .LBB10_17
.LBB10_18:
	s_lshl_b64 s[8:9], s[10:11], 2
	v_mov_b32_e32 v3, 0
	s_add_nc_u64 s[8:9], s[4:5], s[8:9]
	s_lshl_b64 s[14:15], s[16:17], 2
	s_delay_alu instid0(SALU_CYCLE_1)
	s_add_nc_u64 s[8:9], s[8:9], s[14:15]
	global_store_b32 v3, v1, s[8:9]
.LBB10_19:
	s_wait_xcnt 0x0
	s_or_b32 exec_lo, exec_lo, s1
	s_wait_storecnt 0x0
	s_barrier_signal -1
	s_barrier_wait -1
	s_and_saveexec_b32 s1, s0
	s_cbranch_execz .LBB10_22
; %bb.20:
	s_and_b32 s0, s24, exec_lo
	v_mov_b32_e32 v3, 0
	s_cselect_b32 s1, 0, s3
	s_cselect_b32 s0, 0, s2
	s_lshl_b64 s[2:3], s[10:11], 2
	s_delay_alu instid0(SALU_CYCLE_1) | instskip(NEXT) | instid1(SALU_CYCLE_1)
	s_add_nc_u64 s[2:3], s[4:5], s[2:3]
	v_add_nc_u64_e32 v[4:5], s[2:3], v[2:3]
	s_lshl_b64 s[2:3], s[0:1], 2
	s_mov_b32 s1, 0
	s_add_nc_u64 s[2:3], s[6:7], s[2:3]
	s_lshl_b32 s0, s19, 2
	s_mov_b32 s4, s1
.LBB10_21:                              ; =>This Inner Loop Header: Depth=1
	global_load_b32 v1, v3, s[2:3]
	global_load_b32 v2, v[4:5], off
	s_wait_loadcnt 0x0
	v_dual_mul_f32 v1, v1, v2 :: v_dual_add_nc_u32 v0, s19, v0
	s_delay_alu instid0(VALU_DEP_1) | instskip(SKIP_4) | instid1(SALU_CYCLE_1)
	v_cmp_le_i32_e32 vcc_lo, s13, v0
	global_store_b32 v[4:5], v1, off
	s_wait_xcnt 0x0
	v_add_nc_u64_e32 v[4:5], s[0:1], v[4:5]
	s_or_b32 s4, vcc_lo, s4
	s_and_not1_b32 exec_lo, exec_lo, s4
	s_cbranch_execnz .LBB10_21
.LBB10_22:
	s_endpgm
	.section	.rodata,"a",@progbits
	.p2align	6, 0x0
	.amdhsa_kernel _ZN2at6native12_GLOBAL__N_131MultiMarginLoss_backward_kernelILi1EfEEvPT0_PKS3_S6_PKlS6_iibS3_b
		.amdhsa_group_segment_fixed_size 512
		.amdhsa_private_segment_fixed_size 0
		.amdhsa_kernarg_size 320
		.amdhsa_user_sgpr_count 2
		.amdhsa_user_sgpr_dispatch_ptr 0
		.amdhsa_user_sgpr_queue_ptr 0
		.amdhsa_user_sgpr_kernarg_segment_ptr 1
		.amdhsa_user_sgpr_dispatch_id 0
		.amdhsa_user_sgpr_kernarg_preload_length 0
		.amdhsa_user_sgpr_kernarg_preload_offset 0
		.amdhsa_user_sgpr_private_segment_size 0
		.amdhsa_wavefront_size32 1
		.amdhsa_uses_dynamic_stack 0
		.amdhsa_enable_private_segment 0
		.amdhsa_system_sgpr_workgroup_id_x 1
		.amdhsa_system_sgpr_workgroup_id_y 0
		.amdhsa_system_sgpr_workgroup_id_z 0
		.amdhsa_system_sgpr_workgroup_info 0
		.amdhsa_system_vgpr_workitem_id 0
		.amdhsa_next_free_vgpr 12
		.amdhsa_next_free_sgpr 32
		.amdhsa_named_barrier_count 0
		.amdhsa_reserve_vcc 1
		.amdhsa_float_round_mode_32 0
		.amdhsa_float_round_mode_16_64 0
		.amdhsa_float_denorm_mode_32 3
		.amdhsa_float_denorm_mode_16_64 3
		.amdhsa_fp16_overflow 0
		.amdhsa_memory_ordered 1
		.amdhsa_forward_progress 1
		.amdhsa_inst_pref_size 8
		.amdhsa_round_robin_scheduling 0
		.amdhsa_exception_fp_ieee_invalid_op 0
		.amdhsa_exception_fp_denorm_src 0
		.amdhsa_exception_fp_ieee_div_zero 0
		.amdhsa_exception_fp_ieee_overflow 0
		.amdhsa_exception_fp_ieee_underflow 0
		.amdhsa_exception_fp_ieee_inexact 0
		.amdhsa_exception_int_div_zero 0
	.end_amdhsa_kernel
	.section	.text._ZN2at6native12_GLOBAL__N_131MultiMarginLoss_backward_kernelILi1EfEEvPT0_PKS3_S6_PKlS6_iibS3_b,"axG",@progbits,_ZN2at6native12_GLOBAL__N_131MultiMarginLoss_backward_kernelILi1EfEEvPT0_PKS3_S6_PKlS6_iibS3_b,comdat
.Lfunc_end10:
	.size	_ZN2at6native12_GLOBAL__N_131MultiMarginLoss_backward_kernelILi1EfEEvPT0_PKS3_S6_PKlS6_iibS3_b, .Lfunc_end10-_ZN2at6native12_GLOBAL__N_131MultiMarginLoss_backward_kernelILi1EfEEvPT0_PKS3_S6_PKlS6_iibS3_b
                                        ; -- End function
	.set _ZN2at6native12_GLOBAL__N_131MultiMarginLoss_backward_kernelILi1EfEEvPT0_PKS3_S6_PKlS6_iibS3_b.num_vgpr, 12
	.set _ZN2at6native12_GLOBAL__N_131MultiMarginLoss_backward_kernelILi1EfEEvPT0_PKS3_S6_PKlS6_iibS3_b.num_agpr, 0
	.set _ZN2at6native12_GLOBAL__N_131MultiMarginLoss_backward_kernelILi1EfEEvPT0_PKS3_S6_PKlS6_iibS3_b.numbered_sgpr, 32
	.set _ZN2at6native12_GLOBAL__N_131MultiMarginLoss_backward_kernelILi1EfEEvPT0_PKS3_S6_PKlS6_iibS3_b.num_named_barrier, 0
	.set _ZN2at6native12_GLOBAL__N_131MultiMarginLoss_backward_kernelILi1EfEEvPT0_PKS3_S6_PKlS6_iibS3_b.private_seg_size, 0
	.set _ZN2at6native12_GLOBAL__N_131MultiMarginLoss_backward_kernelILi1EfEEvPT0_PKS3_S6_PKlS6_iibS3_b.uses_vcc, 1
	.set _ZN2at6native12_GLOBAL__N_131MultiMarginLoss_backward_kernelILi1EfEEvPT0_PKS3_S6_PKlS6_iibS3_b.uses_flat_scratch, 0
	.set _ZN2at6native12_GLOBAL__N_131MultiMarginLoss_backward_kernelILi1EfEEvPT0_PKS3_S6_PKlS6_iibS3_b.has_dyn_sized_stack, 0
	.set _ZN2at6native12_GLOBAL__N_131MultiMarginLoss_backward_kernelILi1EfEEvPT0_PKS3_S6_PKlS6_iibS3_b.has_recursion, 0
	.set _ZN2at6native12_GLOBAL__N_131MultiMarginLoss_backward_kernelILi1EfEEvPT0_PKS3_S6_PKlS6_iibS3_b.has_indirect_call, 0
	.section	.AMDGPU.csdata,"",@progbits
; Kernel info:
; codeLenInByte = 1012
; TotalNumSgprs: 34
; NumVgprs: 12
; ScratchSize: 0
; MemoryBound: 0
; FloatMode: 240
; IeeeMode: 1
; LDSByteSize: 512 bytes/workgroup (compile time only)
; SGPRBlocks: 0
; VGPRBlocks: 0
; NumSGPRsForWavesPerEU: 34
; NumVGPRsForWavesPerEU: 12
; NamedBarCnt: 0
; Occupancy: 16
; WaveLimiterHint : 1
; COMPUTE_PGM_RSRC2:SCRATCH_EN: 0
; COMPUTE_PGM_RSRC2:USER_SGPR: 2
; COMPUTE_PGM_RSRC2:TRAP_HANDLER: 0
; COMPUTE_PGM_RSRC2:TGID_X_EN: 1
; COMPUTE_PGM_RSRC2:TGID_Y_EN: 0
; COMPUTE_PGM_RSRC2:TGID_Z_EN: 0
; COMPUTE_PGM_RSRC2:TIDIG_COMP_CNT: 0
	.section	.text._ZN2at6native12_GLOBAL__N_131MultiMarginLoss_backward_kernelILi2EfEEvPT0_PKS3_S6_PKlS6_iibS3_b,"axG",@progbits,_ZN2at6native12_GLOBAL__N_131MultiMarginLoss_backward_kernelILi2EfEEvPT0_PKS3_S6_PKlS6_iibS3_b,comdat
	.globl	_ZN2at6native12_GLOBAL__N_131MultiMarginLoss_backward_kernelILi2EfEEvPT0_PKS3_S6_PKlS6_iibS3_b ; -- Begin function _ZN2at6native12_GLOBAL__N_131MultiMarginLoss_backward_kernelILi2EfEEvPT0_PKS3_S6_PKlS6_iibS3_b
	.p2align	8
	.type	_ZN2at6native12_GLOBAL__N_131MultiMarginLoss_backward_kernelILi2EfEEvPT0_PKS3_S6_PKlS6_iibS3_b,@function
_ZN2at6native12_GLOBAL__N_131MultiMarginLoss_backward_kernelILi2EfEEvPT0_PKS3_S6_PKlS6_iibS3_b: ; @_ZN2at6native12_GLOBAL__N_131MultiMarginLoss_backward_kernelILi2EfEEvPT0_PKS3_S6_PKlS6_iibS3_b
; %bb.0:
	s_clause 0x2
	s_load_b32 s2, s[0:1], 0x38
	s_load_b256 s[4:11], s[0:1], 0x0
	s_load_b32 s20, s[0:1], 0x4c
	s_getreg_b32 s12, hwreg(HW_REG_IB_STS2, 6, 4)
	v_dual_mov_b32 v3, 0 :: v_dual_lshlrev_b32 v2, 2, v0
	s_mov_b32 s21, 0
	s_wait_kmcnt 0x0
	s_bitcmp1_b32 s2, 0
	s_cselect_b32 s24, -1, 0
	s_bfe_u32 s2, ttmp6, 0x4000c
	s_and_b32 s3, ttmp6, 15
	s_add_co_i32 s2, s2, 1
	s_delay_alu instid0(SALU_CYCLE_1) | instskip(NEXT) | instid1(SALU_CYCLE_1)
	s_mul_i32 s2, ttmp9, s2
	s_add_co_i32 s3, s3, s2
	s_cmp_eq_u32 s12, 0
	s_load_b128 s[12:15], s[0:1], 0x28
	s_cselect_b32 s2, ttmp9, s3
	s_delay_alu instid0(SALU_CYCLE_1) | instskip(NEXT) | instid1(SALU_CYCLE_1)
	s_ashr_i32 s3, s2, 31
	s_lshl_b64 s[16:17], s[2:3], 3
	s_delay_alu instid0(SALU_CYCLE_1)
	s_add_nc_u64 s[10:11], s[10:11], s[16:17]
	s_load_b64 s[18:19], s[10:11], 0x0
	s_load_b64 s[22:23], s[0:1], 0x20
	ds_store_b32 v2, v3
	s_wait_kmcnt 0x0
	v_cmp_gt_i32_e64 s0, s13, v0
	s_mul_i32 s10, s13, s2
	s_delay_alu instid0(SALU_CYCLE_1)
	s_ashr_i32 s11, s10, 31
	s_bfe_i64 s[16:17], s[18:19], 0x200000
	s_and_b32 s19, s20, 0xffff
	s_and_saveexec_b32 s1, s0
	s_cbranch_execz .LBB11_9
; %bb.1:
	s_bitcmp1_b32 s14, 0
	s_cselect_b32 s14, -1, 0
	s_lshl_b64 s[26:27], s[10:11], 2
	s_and_b32 s14, s14, s24
	s_lshl_b64 s[28:29], s[16:17], 2
	s_and_b32 s14, s14, exec_lo
	s_cselect_b32 s12, s12, 1
	s_add_nc_u64 s[30:31], s[8:9], s[26:27]
	s_mul_i32 s12, s12, s13
	s_add_nc_u64 s[30:31], s[30:31], s[28:29]
	s_cvt_f32_i32 s12, s12
	s_load_b32 s14, s[30:31], 0x0
	s_cmp_lg_u64 s[22:23], 0
	s_delay_alu instid0(SALU_CYCLE_1) | instskip(SKIP_1) | instid1(VALU_DEP_2)
	v_div_scale_f32 v1, null, s12, s12, 1.0
	v_div_scale_f32 v6, vcc_lo, 1.0, s12, 1.0
	v_rcp_f32_e32 v4, v1
	v_nop
	v_xor_b32_e32 v1, 0x80000000, v1
	s_delay_alu instid0(TRANS32_DEP_1) | instid1(VALU_DEP_1)
	v_fma_f32 v5, v1, v4, 1.0
	s_wait_kmcnt 0x0
	s_sub_f32 s25, s15, s14
	s_delay_alu instid0(VALU_DEP_1) | instskip(SKIP_2) | instid1(VALU_DEP_1)
	v_fmac_f32_e32 v4, v5, v4
	s_add_nc_u64 s[14:15], s[22:23], s[28:29]
	s_mov_b32 s22, s21
	v_mul_f32_e32 v5, v6, v4
	s_delay_alu instid0(VALU_DEP_1) | instskip(NEXT) | instid1(VALU_DEP_1)
	v_fma_f32 v7, v1, v5, v6
	v_dual_fmac_f32 v5, v7, v4 :: v_dual_mov_b32 v7, v0
	s_delay_alu instid0(VALU_DEP_1) | instskip(NEXT) | instid1(VALU_DEP_1)
	v_dual_fmac_f32 v6, v1, v5 :: v_dual_mov_b32 v1, 0
	v_div_fmas_f32 v4, v6, v4, v5
	s_delay_alu instid0(VALU_DEP_1) | instskip(SKIP_3) | instid1(VALU_DEP_2)
	v_div_fixup_f32 v6, v4, s12, 1.0
	v_add_nc_u64_e32 v[4:5], s[26:27], v[2:3]
	s_cselect_b32 s12, -1, 0
	s_lshl_b32 s20, s19, 2
	v_add_f32_e32 v6, v6, v6
	s_branch .LBB11_5
.LBB11_2:                               ;   in Loop: Header=BB11_5 Depth=1
	s_delay_alu instid0(VALU_DEP_1)
	v_sub_f32_e32 v1, v1, v8
	ds_store_b32 v2, v1
.LBB11_3:                               ;   in Loop: Header=BB11_5 Depth=1
	s_wait_xcnt 0x0
	s_or_b32 exec_lo, exec_lo, s26
	v_add_nc_u64_e32 v[10:11], s[4:5], v[4:5]
	global_store_b32 v[10:11], v8, off
.LBB11_4:                               ;   in Loop: Header=BB11_5 Depth=1
	s_wait_xcnt 0x0
	s_or_b32 exec_lo, exec_lo, s23
	v_add_nc_u32_e32 v7, s19, v7
	v_add_nc_u64_e32 v[4:5], s[20:21], v[4:5]
	s_delay_alu instid0(VALU_DEP_2) | instskip(SKIP_1) | instid1(SALU_CYCLE_1)
	v_cmp_le_i32_e32 vcc_lo, s13, v7
	s_or_b32 s22, vcc_lo, s22
	s_and_not1_b32 exec_lo, exec_lo, s22
	s_cbranch_execz .LBB11_9
.LBB11_5:                               ; =>This Inner Loop Header: Depth=1
	s_mov_b32 s23, exec_lo
	v_cmpx_ne_u32_e64 s18, v7
	s_cbranch_execz .LBB11_4
; %bb.6:                                ;   in Loop: Header=BB11_5 Depth=1
	v_add_nc_u64_e32 v[8:9], s[8:9], v[4:5]
	s_mov_b32 s26, exec_lo
	global_load_b32 v8, v[8:9], off
	s_wait_loadcnt 0x0
	s_wait_xcnt 0x0
	v_dual_add_f32 v9, s25, v8 :: v_dual_mov_b32 v8, 0
	s_delay_alu instid0(VALU_DEP_1)
	v_cmpx_lt_f32_e32 0, v9
	s_cbranch_execz .LBB11_3
; %bb.7:                                ;   in Loop: Header=BB11_5 Depth=1
	v_mul_f32_e32 v8, v6, v9
	s_and_not1_b32 vcc_lo, exec_lo, s12
	s_cbranch_vccnz .LBB11_2
; %bb.8:                                ;   in Loop: Header=BB11_5 Depth=1
	global_load_b32 v9, v3, s[14:15]
	s_wait_loadcnt 0x0
	v_mul_f32_e32 v8, v8, v9
	s_branch .LBB11_2
.LBB11_9:
	s_or_b32 exec_lo, exec_lo, s1
	s_delay_alu instid0(SALU_CYCLE_1)
	s_mov_b32 s1, exec_lo
	s_wait_storecnt_dscnt 0x0
	s_barrier_signal -1
	s_barrier_wait -1
	v_cmpx_eq_u32_e32 0, v0
	s_cbranch_execz .LBB11_19
; %bb.10:
	v_mov_b32_e32 v1, 0
	s_cmp_eq_u32 s19, 0
	s_cbranch_scc1 .LBB11_18
; %bb.11:
	s_cmp_lt_u32 s19, 8
	s_cbranch_scc1 .LBB11_15
; %bb.12:
	s_and_b32 s8, s19, 0xfff8
	s_mov_b32 s9, 0
	s_mov_b32 s12, 0
.LBB11_13:                              ; =>This Inner Loop Header: Depth=1
	v_mov_b32_e32 v3, s9
	s_add_co_i32 s12, s12, 8
	s_add_co_i32 s9, s9, 32
	s_cmp_eq_u32 s8, s12
	ds_load_b128 v[4:7], v3
	ds_load_b128 v[8:11], v3 offset:16
	s_wait_dscnt 0x1
	v_add_f32_e32 v1, v1, v4
	s_delay_alu instid0(VALU_DEP_1) | instskip(NEXT) | instid1(VALU_DEP_1)
	v_add_f32_e32 v1, v1, v5
	v_add_f32_e32 v1, v1, v6
	s_delay_alu instid0(VALU_DEP_1) | instskip(SKIP_1) | instid1(VALU_DEP_1)
	v_add_f32_e32 v1, v1, v7
	s_wait_dscnt 0x0
	v_add_f32_e32 v1, v1, v8
	s_delay_alu instid0(VALU_DEP_1) | instskip(NEXT) | instid1(VALU_DEP_1)
	v_add_f32_e32 v1, v1, v9
	v_add_f32_e32 v1, v1, v10
	s_delay_alu instid0(VALU_DEP_1)
	v_add_f32_e32 v1, v1, v11
	s_cbranch_scc0 .LBB11_13
; %bb.14:
	s_and_b32 s9, s19, 7
	s_delay_alu instid0(SALU_CYCLE_1)
	s_cmp_eq_u32 s9, 0
	s_cbranch_scc0 .LBB11_16
	s_branch .LBB11_18
.LBB11_15:
	s_mov_b32 s8, 0
	s_and_b32 s9, s19, 7
	s_delay_alu instid0(SALU_CYCLE_1)
	s_cmp_eq_u32 s9, 0
	s_cbranch_scc1 .LBB11_18
.LBB11_16:
	s_lshl_b32 s8, s8, 2
.LBB11_17:                              ; =>This Inner Loop Header: Depth=1
	s_delay_alu instid0(SALU_CYCLE_1)
	v_mov_b32_e32 v3, s8
	s_add_co_i32 s9, s9, -1
	s_add_co_i32 s8, s8, 4
	s_cmp_lg_u32 s9, 0
	ds_load_b32 v3, v3
	s_wait_dscnt 0x0
	v_add_f32_e32 v1, v1, v3
	s_cbranch_scc1 .LBB11_17
.LBB11_18:
	s_lshl_b64 s[8:9], s[10:11], 2
	v_mov_b32_e32 v3, 0
	s_add_nc_u64 s[8:9], s[4:5], s[8:9]
	s_lshl_b64 s[14:15], s[16:17], 2
	s_delay_alu instid0(SALU_CYCLE_1)
	s_add_nc_u64 s[8:9], s[8:9], s[14:15]
	global_store_b32 v3, v1, s[8:9]
.LBB11_19:
	s_wait_xcnt 0x0
	s_or_b32 exec_lo, exec_lo, s1
	s_wait_storecnt 0x0
	s_barrier_signal -1
	s_barrier_wait -1
	s_and_saveexec_b32 s1, s0
	s_cbranch_execz .LBB11_22
; %bb.20:
	s_and_b32 s0, s24, exec_lo
	v_mov_b32_e32 v3, 0
	s_cselect_b32 s1, 0, s3
	s_cselect_b32 s0, 0, s2
	s_lshl_b64 s[2:3], s[10:11], 2
	s_delay_alu instid0(SALU_CYCLE_1) | instskip(NEXT) | instid1(SALU_CYCLE_1)
	s_add_nc_u64 s[2:3], s[4:5], s[2:3]
	v_add_nc_u64_e32 v[4:5], s[2:3], v[2:3]
	s_lshl_b64 s[2:3], s[0:1], 2
	s_mov_b32 s1, 0
	s_add_nc_u64 s[2:3], s[6:7], s[2:3]
	s_lshl_b32 s0, s19, 2
	s_mov_b32 s4, s1
.LBB11_21:                              ; =>This Inner Loop Header: Depth=1
	global_load_b32 v1, v3, s[2:3]
	global_load_b32 v2, v[4:5], off
	s_wait_loadcnt 0x0
	v_dual_mul_f32 v1, v1, v2 :: v_dual_add_nc_u32 v0, s19, v0
	s_delay_alu instid0(VALU_DEP_1) | instskip(SKIP_4) | instid1(SALU_CYCLE_1)
	v_cmp_le_i32_e32 vcc_lo, s13, v0
	global_store_b32 v[4:5], v1, off
	s_wait_xcnt 0x0
	v_add_nc_u64_e32 v[4:5], s[0:1], v[4:5]
	s_or_b32 s4, vcc_lo, s4
	s_and_not1_b32 exec_lo, exec_lo, s4
	s_cbranch_execnz .LBB11_21
.LBB11_22:
	s_endpgm
	.section	.rodata,"a",@progbits
	.p2align	6, 0x0
	.amdhsa_kernel _ZN2at6native12_GLOBAL__N_131MultiMarginLoss_backward_kernelILi2EfEEvPT0_PKS3_S6_PKlS6_iibS3_b
		.amdhsa_group_segment_fixed_size 512
		.amdhsa_private_segment_fixed_size 0
		.amdhsa_kernarg_size 320
		.amdhsa_user_sgpr_count 2
		.amdhsa_user_sgpr_dispatch_ptr 0
		.amdhsa_user_sgpr_queue_ptr 0
		.amdhsa_user_sgpr_kernarg_segment_ptr 1
		.amdhsa_user_sgpr_dispatch_id 0
		.amdhsa_user_sgpr_kernarg_preload_length 0
		.amdhsa_user_sgpr_kernarg_preload_offset 0
		.amdhsa_user_sgpr_private_segment_size 0
		.amdhsa_wavefront_size32 1
		.amdhsa_uses_dynamic_stack 0
		.amdhsa_enable_private_segment 0
		.amdhsa_system_sgpr_workgroup_id_x 1
		.amdhsa_system_sgpr_workgroup_id_y 0
		.amdhsa_system_sgpr_workgroup_id_z 0
		.amdhsa_system_sgpr_workgroup_info 0
		.amdhsa_system_vgpr_workitem_id 0
		.amdhsa_next_free_vgpr 12
		.amdhsa_next_free_sgpr 32
		.amdhsa_named_barrier_count 0
		.amdhsa_reserve_vcc 1
		.amdhsa_float_round_mode_32 0
		.amdhsa_float_round_mode_16_64 0
		.amdhsa_float_denorm_mode_32 3
		.amdhsa_float_denorm_mode_16_64 3
		.amdhsa_fp16_overflow 0
		.amdhsa_memory_ordered 1
		.amdhsa_forward_progress 1
		.amdhsa_inst_pref_size 8
		.amdhsa_round_robin_scheduling 0
		.amdhsa_exception_fp_ieee_invalid_op 0
		.amdhsa_exception_fp_denorm_src 0
		.amdhsa_exception_fp_ieee_div_zero 0
		.amdhsa_exception_fp_ieee_overflow 0
		.amdhsa_exception_fp_ieee_underflow 0
		.amdhsa_exception_fp_ieee_inexact 0
		.amdhsa_exception_int_div_zero 0
	.end_amdhsa_kernel
	.section	.text._ZN2at6native12_GLOBAL__N_131MultiMarginLoss_backward_kernelILi2EfEEvPT0_PKS3_S6_PKlS6_iibS3_b,"axG",@progbits,_ZN2at6native12_GLOBAL__N_131MultiMarginLoss_backward_kernelILi2EfEEvPT0_PKS3_S6_PKlS6_iibS3_b,comdat
.Lfunc_end11:
	.size	_ZN2at6native12_GLOBAL__N_131MultiMarginLoss_backward_kernelILi2EfEEvPT0_PKS3_S6_PKlS6_iibS3_b, .Lfunc_end11-_ZN2at6native12_GLOBAL__N_131MultiMarginLoss_backward_kernelILi2EfEEvPT0_PKS3_S6_PKlS6_iibS3_b
                                        ; -- End function
	.set _ZN2at6native12_GLOBAL__N_131MultiMarginLoss_backward_kernelILi2EfEEvPT0_PKS3_S6_PKlS6_iibS3_b.num_vgpr, 12
	.set _ZN2at6native12_GLOBAL__N_131MultiMarginLoss_backward_kernelILi2EfEEvPT0_PKS3_S6_PKlS6_iibS3_b.num_agpr, 0
	.set _ZN2at6native12_GLOBAL__N_131MultiMarginLoss_backward_kernelILi2EfEEvPT0_PKS3_S6_PKlS6_iibS3_b.numbered_sgpr, 32
	.set _ZN2at6native12_GLOBAL__N_131MultiMarginLoss_backward_kernelILi2EfEEvPT0_PKS3_S6_PKlS6_iibS3_b.num_named_barrier, 0
	.set _ZN2at6native12_GLOBAL__N_131MultiMarginLoss_backward_kernelILi2EfEEvPT0_PKS3_S6_PKlS6_iibS3_b.private_seg_size, 0
	.set _ZN2at6native12_GLOBAL__N_131MultiMarginLoss_backward_kernelILi2EfEEvPT0_PKS3_S6_PKlS6_iibS3_b.uses_vcc, 1
	.set _ZN2at6native12_GLOBAL__N_131MultiMarginLoss_backward_kernelILi2EfEEvPT0_PKS3_S6_PKlS6_iibS3_b.uses_flat_scratch, 0
	.set _ZN2at6native12_GLOBAL__N_131MultiMarginLoss_backward_kernelILi2EfEEvPT0_PKS3_S6_PKlS6_iibS3_b.has_dyn_sized_stack, 0
	.set _ZN2at6native12_GLOBAL__N_131MultiMarginLoss_backward_kernelILi2EfEEvPT0_PKS3_S6_PKlS6_iibS3_b.has_recursion, 0
	.set _ZN2at6native12_GLOBAL__N_131MultiMarginLoss_backward_kernelILi2EfEEvPT0_PKS3_S6_PKlS6_iibS3_b.has_indirect_call, 0
	.section	.AMDGPU.csdata,"",@progbits
; Kernel info:
; codeLenInByte = 1016
; TotalNumSgprs: 34
; NumVgprs: 12
; ScratchSize: 0
; MemoryBound: 0
; FloatMode: 240
; IeeeMode: 1
; LDSByteSize: 512 bytes/workgroup (compile time only)
; SGPRBlocks: 0
; VGPRBlocks: 0
; NumSGPRsForWavesPerEU: 34
; NumVGPRsForWavesPerEU: 12
; NamedBarCnt: 0
; Occupancy: 16
; WaveLimiterHint : 1
; COMPUTE_PGM_RSRC2:SCRATCH_EN: 0
; COMPUTE_PGM_RSRC2:USER_SGPR: 2
; COMPUTE_PGM_RSRC2:TRAP_HANDLER: 0
; COMPUTE_PGM_RSRC2:TGID_X_EN: 1
; COMPUTE_PGM_RSRC2:TGID_Y_EN: 0
; COMPUTE_PGM_RSRC2:TGID_Z_EN: 0
; COMPUTE_PGM_RSRC2:TIDIG_COMP_CNT: 0
	.section	.text._ZN2at6native12_GLOBAL__N_131MultiMarginLoss_backward_kernelILi1EN3c104HalfEEEvPT0_PKS5_S8_PKlS8_iibS5_b,"axG",@progbits,_ZN2at6native12_GLOBAL__N_131MultiMarginLoss_backward_kernelILi1EN3c104HalfEEEvPT0_PKS5_S8_PKlS8_iibS5_b,comdat
	.globl	_ZN2at6native12_GLOBAL__N_131MultiMarginLoss_backward_kernelILi1EN3c104HalfEEEvPT0_PKS5_S8_PKlS8_iibS5_b ; -- Begin function _ZN2at6native12_GLOBAL__N_131MultiMarginLoss_backward_kernelILi1EN3c104HalfEEEvPT0_PKS5_S8_PKlS8_iibS5_b
	.p2align	8
	.type	_ZN2at6native12_GLOBAL__N_131MultiMarginLoss_backward_kernelILi1EN3c104HalfEEEvPT0_PKS5_S8_PKlS8_iibS5_b,@function
_ZN2at6native12_GLOBAL__N_131MultiMarginLoss_backward_kernelILi1EN3c104HalfEEEvPT0_PKS5_S8_PKlS8_iibS5_b: ; @_ZN2at6native12_GLOBAL__N_131MultiMarginLoss_backward_kernelILi1EN3c104HalfEEEvPT0_PKS5_S8_PKlS8_iibS5_b
; %bb.0:
	s_clause 0x2
	s_load_b64 s[22:23], s[0:1], 0x30
	s_load_b256 s[4:11], s[0:1], 0x0
	s_load_b32 s24, s[0:1], 0x44
	s_getreg_b32 s12, hwreg(HW_REG_IB_STS2, 6, 4)
	v_dual_mov_b32 v3, 0 :: v_dual_lshlrev_b32 v1, 2, v0
	v_lshlrev_b32_e32 v2, 1, v0
	s_mov_b32 s15, 0
	s_wait_kmcnt 0x0
	s_bitcmp1_b32 s23, 0
	s_cselect_b32 s23, -1, 0
	s_bfe_u32 s2, ttmp6, 0x4000c
	s_and_b32 s3, ttmp6, 15
	s_add_co_i32 s2, s2, 1
	s_delay_alu instid0(SALU_CYCLE_1) | instskip(NEXT) | instid1(SALU_CYCLE_1)
	s_mul_i32 s2, ttmp9, s2
	s_add_co_i32 s3, s3, s2
	s_cmp_eq_u32 s12, 0
	s_load_b96 s[12:14], s[0:1], 0x28
	s_cselect_b32 s2, ttmp9, s3
	s_delay_alu instid0(SALU_CYCLE_1) | instskip(NEXT) | instid1(SALU_CYCLE_1)
	s_ashr_i32 s3, s2, 31
	s_lshl_b64 s[16:17], s[2:3], 3
	s_delay_alu instid0(SALU_CYCLE_1)
	s_add_nc_u64 s[10:11], s[10:11], s[16:17]
	s_load_b64 s[18:19], s[10:11], 0x0
	s_load_b64 s[20:21], s[0:1], 0x20
	ds_store_b32 v1, v3
	s_wait_kmcnt 0x0
	v_cmp_gt_i32_e64 s0, s13, v0
	s_mul_i32 s10, s13, s2
	s_delay_alu instid0(SALU_CYCLE_1)
	s_ashr_i32 s11, s10, 31
	s_bfe_i64 s[16:17], s[18:19], 0x200000
	s_and_b32 s19, s24, 0xffff
	s_and_saveexec_b32 s1, s0
	s_cbranch_execz .LBB12_11
; %bb.1:
	s_bitcmp1_b32 s14, 0
	v_mov_b32_e32 v11, v0
	s_cselect_b32 s14, -1, 0
	s_lshl_b64 s[24:25], s[10:11], 1
	s_lshl_b64 s[26:27], s[16:17], 1
	s_add_nc_u64 s[28:29], s[8:9], s[24:25]
	s_and_b32 s14, s14, s23
	s_add_nc_u64 s[28:29], s[28:29], s[26:27]
	s_lshr_b32 s22, s22, 16
	global_load_u16 v6, v3, s[28:29]
	s_and_b32 s14, s14, exec_lo
	s_cselect_b32 s12, s12, 1
	s_cmp_lg_u64 s[20:21], 0
	s_mul_i32 s12, s12, s13
	s_add_nc_u64 s[20:21], s[20:21], s[26:27]
	s_cvt_f32_i32 s14, s12
	s_cselect_b32 s12, -1, 0
	s_delay_alu instid0(SALU_CYCLE_2) | instskip(SKIP_1) | instid1(VALU_DEP_2)
	v_div_scale_f32 v4, null, s14, s14, 1.0
	v_div_scale_f32 v9, vcc_lo, 1.0, s14, 1.0
	v_rcp_f32_e32 v5, v4
	v_nop
	v_xor_b32_e32 v4, 0x80000000, v4
	s_delay_alu instid0(TRANS32_DEP_1) | instid1(VALU_DEP_1)
	v_fma_f32 v7, v4, v5, 1.0
	s_delay_alu instid0(VALU_DEP_1) | instskip(NEXT) | instid1(VALU_DEP_1)
	v_fmac_f32_e32 v5, v7, v5
	v_mul_f32_e32 v7, v9, v5
	s_delay_alu instid0(VALU_DEP_1) | instskip(NEXT) | instid1(VALU_DEP_1)
	v_fma_f32 v8, v4, v7, v9
	v_dual_fmac_f32 v7, v8, v5 :: v_dual_mov_b32 v8, 0
	s_delay_alu instid0(VALU_DEP_1) | instskip(NEXT) | instid1(VALU_DEP_1)
	v_fmac_f32_e32 v9, v4, v7
	v_div_fmas_f32 v7, v9, v5, v7
	v_add_nc_u64_e32 v[4:5], s[24:25], v[2:3]
	s_delay_alu instid0(VALU_DEP_2)
	v_div_fixup_f32 v9, v7, s14, 1.0
	s_lshl_b32 s14, s19, 1
	s_wait_loadcnt 0x0
	v_sub_f16_e32 v10, s22, v6
	s_mov_b32 s22, s15
	s_branch .LBB12_5
.LBB12_2:                               ;   in Loop: Header=BB12_5 Depth=1
	s_delay_alu instid0(VALU_DEP_1) | instskip(NEXT) | instid1(VALU_DEP_1)
	v_cvt_f16_f32_e32 v12, v12
	v_cvt_f32_f16_e32 v13, v12
	global_store_b16 v[6:7], v12, off
	v_sub_f32_e32 v8, v8, v13
	ds_store_b32 v1, v8
.LBB12_3:                               ;   in Loop: Header=BB12_5 Depth=1
	s_wait_xcnt 0x0
	s_or_b32 exec_lo, exec_lo, s25
.LBB12_4:                               ;   in Loop: Header=BB12_5 Depth=1
	s_delay_alu instid0(SALU_CYCLE_1) | instskip(SKIP_2) | instid1(VALU_DEP_2)
	s_or_b32 exec_lo, exec_lo, s24
	v_add_nc_u32_e32 v11, s19, v11
	v_add_nc_u64_e32 v[4:5], s[14:15], v[4:5]
	v_cmp_le_i32_e32 vcc_lo, s13, v11
	s_or_b32 s22, vcc_lo, s22
	s_delay_alu instid0(SALU_CYCLE_1)
	s_and_not1_b32 exec_lo, exec_lo, s22
	s_cbranch_execz .LBB12_11
.LBB12_5:                               ; =>This Inner Loop Header: Depth=1
	s_mov_b32 s24, exec_lo
	v_cmpx_ne_u32_e64 s18, v11
	s_cbranch_execz .LBB12_4
; %bb.6:                                ;   in Loop: Header=BB12_5 Depth=1
	v_add_nc_u64_e32 v[6:7], s[8:9], v[4:5]
	s_mov_b32 s25, exec_lo
	global_load_u16 v6, v[6:7], off
	s_wait_loadcnt 0x0
	v_add_f16_e32 v12, v10, v6
	s_wait_xcnt 0x0
	v_add_nc_u64_e32 v[6:7], s[4:5], v[4:5]
	s_delay_alu instid0(VALU_DEP_2)
	v_cmpx_nlt_f16_e32 0, v12
	s_xor_b32 s25, exec_lo, s25
	s_cbranch_execz .LBB12_8
; %bb.7:                                ;   in Loop: Header=BB12_5 Depth=1
	global_store_b16 v[6:7], v3, off
                                        ; implicit-def: $vgpr6_vgpr7
.LBB12_8:                               ;   in Loop: Header=BB12_5 Depth=1
	s_wait_xcnt 0x0
	s_and_not1_saveexec_b32 s25, s25
	s_cbranch_execz .LBB12_3
; %bb.9:                                ;   in Loop: Header=BB12_5 Depth=1
	v_mov_b32_e32 v12, v9
	s_and_not1_b32 vcc_lo, exec_lo, s12
	s_cbranch_vccnz .LBB12_2
; %bb.10:                               ;   in Loop: Header=BB12_5 Depth=1
	global_load_u16 v12, v3, s[20:21]
	s_wait_loadcnt 0x0
	v_cvt_f32_f16_e32 v12, v12
	s_delay_alu instid0(VALU_DEP_1)
	v_mul_f32_e32 v12, v9, v12
	s_branch .LBB12_2
.LBB12_11:
	s_or_b32 exec_lo, exec_lo, s1
	s_delay_alu instid0(SALU_CYCLE_1)
	s_mov_b32 s1, exec_lo
	s_wait_storecnt_dscnt 0x0
	s_barrier_signal -1
	s_barrier_wait -1
	v_cmpx_eq_u32_e32 0, v0
	s_cbranch_execz .LBB12_22
; %bb.12:
	v_mov_b32_e32 v1, 0
	s_cmp_eq_u32 s19, 0
	s_cbranch_scc1 .LBB12_21
; %bb.13:
	s_cmp_lt_u32 s19, 8
	s_cbranch_scc1 .LBB12_17
; %bb.14:
	s_and_b32 s8, s19, 0xfff8
	s_mov_b32 s9, 0
	s_mov_b32 s12, 0
.LBB12_15:                              ; =>This Inner Loop Header: Depth=1
	v_mov_b32_e32 v3, s9
	s_add_co_i32 s12, s12, 8
	s_add_co_i32 s9, s9, 32
	s_cmp_eq_u32 s8, s12
	ds_load_b128 v[4:7], v3
	ds_load_b128 v[8:11], v3 offset:16
	s_wait_dscnt 0x1
	v_add_f32_e32 v1, v1, v4
	s_delay_alu instid0(VALU_DEP_1) | instskip(NEXT) | instid1(VALU_DEP_1)
	v_add_f32_e32 v1, v1, v5
	v_add_f32_e32 v1, v1, v6
	s_delay_alu instid0(VALU_DEP_1) | instskip(SKIP_1) | instid1(VALU_DEP_1)
	v_add_f32_e32 v1, v1, v7
	s_wait_dscnt 0x0
	v_add_f32_e32 v1, v1, v8
	s_delay_alu instid0(VALU_DEP_1) | instskip(NEXT) | instid1(VALU_DEP_1)
	v_add_f32_e32 v1, v1, v9
	v_add_f32_e32 v1, v1, v10
	s_delay_alu instid0(VALU_DEP_1)
	v_add_f32_e32 v1, v1, v11
	s_cbranch_scc0 .LBB12_15
; %bb.16:
	s_and_b32 s9, s19, 7
	s_delay_alu instid0(SALU_CYCLE_1)
	s_cmp_eq_u32 s9, 0
	s_cbranch_scc0 .LBB12_18
	s_branch .LBB12_20
.LBB12_17:
	s_mov_b32 s8, 0
	s_and_b32 s9, s19, 7
	s_delay_alu instid0(SALU_CYCLE_1)
	s_cmp_eq_u32 s9, 0
	s_cbranch_scc1 .LBB12_20
.LBB12_18:
	s_lshl_b32 s8, s8, 2
.LBB12_19:                              ; =>This Inner Loop Header: Depth=1
	s_delay_alu instid0(SALU_CYCLE_1)
	v_mov_b32_e32 v3, s8
	s_add_co_i32 s9, s9, -1
	s_add_co_i32 s8, s8, 4
	s_cmp_lg_u32 s9, 0
	ds_load_b32 v3, v3
	s_wait_dscnt 0x0
	v_add_f32_e32 v1, v1, v3
	s_cbranch_scc1 .LBB12_19
.LBB12_20:
	s_delay_alu instid0(VALU_DEP_1)
	v_cvt_f16_f32_e32 v1, v1
.LBB12_21:
	s_lshl_b64 s[8:9], s[10:11], 1
	v_mov_b32_e32 v3, 0
	s_add_nc_u64 s[8:9], s[4:5], s[8:9]
	s_lshl_b64 s[14:15], s[16:17], 1
	s_delay_alu instid0(SALU_CYCLE_1)
	s_add_nc_u64 s[8:9], s[8:9], s[14:15]
	global_store_b16 v3, v1, s[8:9]
.LBB12_22:
	s_wait_xcnt 0x0
	s_or_b32 exec_lo, exec_lo, s1
	s_wait_storecnt 0x0
	s_barrier_signal -1
	s_barrier_wait -1
	s_and_saveexec_b32 s1, s0
	s_cbranch_execz .LBB12_25
; %bb.23:
	s_and_b32 s0, s23, exec_lo
	v_mov_b32_e32 v3, 0
	s_cselect_b32 s1, 0, s3
	s_cselect_b32 s0, 0, s2
	s_lshl_b64 s[2:3], s[10:11], 1
	s_delay_alu instid0(SALU_CYCLE_1) | instskip(NEXT) | instid1(SALU_CYCLE_1)
	s_add_nc_u64 s[2:3], s[4:5], s[2:3]
	v_add_nc_u64_e32 v[4:5], s[2:3], v[2:3]
	s_lshl_b64 s[2:3], s[0:1], 1
	s_mov_b32 s1, 0
	s_add_nc_u64 s[2:3], s[6:7], s[2:3]
	s_lshl_b32 s0, s19, 1
	s_mov_b32 s4, s1
.LBB12_24:                              ; =>This Inner Loop Header: Depth=1
	global_load_u16 v1, v3, s[2:3]
	global_load_u16 v2, v[4:5], off
	v_add_nc_u32_e32 v0, s19, v0
	s_delay_alu instid0(VALU_DEP_1)
	v_cmp_le_i32_e32 vcc_lo, s13, v0
	s_or_b32 s4, vcc_lo, s4
	s_wait_loadcnt 0x0
	v_mul_f16_e32 v1, v1, v2
	global_store_b16 v[4:5], v1, off
	s_wait_xcnt 0x0
	v_add_nc_u64_e32 v[4:5], s[0:1], v[4:5]
	s_and_not1_b32 exec_lo, exec_lo, s4
	s_cbranch_execnz .LBB12_24
.LBB12_25:
	s_endpgm
	.section	.rodata,"a",@progbits
	.p2align	6, 0x0
	.amdhsa_kernel _ZN2at6native12_GLOBAL__N_131MultiMarginLoss_backward_kernelILi1EN3c104HalfEEEvPT0_PKS5_S8_PKlS8_iibS5_b
		.amdhsa_group_segment_fixed_size 512
		.amdhsa_private_segment_fixed_size 0
		.amdhsa_kernarg_size 312
		.amdhsa_user_sgpr_count 2
		.amdhsa_user_sgpr_dispatch_ptr 0
		.amdhsa_user_sgpr_queue_ptr 0
		.amdhsa_user_sgpr_kernarg_segment_ptr 1
		.amdhsa_user_sgpr_dispatch_id 0
		.amdhsa_user_sgpr_kernarg_preload_length 0
		.amdhsa_user_sgpr_kernarg_preload_offset 0
		.amdhsa_user_sgpr_private_segment_size 0
		.amdhsa_wavefront_size32 1
		.amdhsa_uses_dynamic_stack 0
		.amdhsa_enable_private_segment 0
		.amdhsa_system_sgpr_workgroup_id_x 1
		.amdhsa_system_sgpr_workgroup_id_y 0
		.amdhsa_system_sgpr_workgroup_id_z 0
		.amdhsa_system_sgpr_workgroup_info 0
		.amdhsa_system_vgpr_workitem_id 0
		.amdhsa_next_free_vgpr 14
		.amdhsa_next_free_sgpr 30
		.amdhsa_named_barrier_count 0
		.amdhsa_reserve_vcc 1
		.amdhsa_float_round_mode_32 0
		.amdhsa_float_round_mode_16_64 0
		.amdhsa_float_denorm_mode_32 3
		.amdhsa_float_denorm_mode_16_64 3
		.amdhsa_fp16_overflow 0
		.amdhsa_memory_ordered 1
		.amdhsa_forward_progress 1
		.amdhsa_inst_pref_size 9
		.amdhsa_round_robin_scheduling 0
		.amdhsa_exception_fp_ieee_invalid_op 0
		.amdhsa_exception_fp_denorm_src 0
		.amdhsa_exception_fp_ieee_div_zero 0
		.amdhsa_exception_fp_ieee_overflow 0
		.amdhsa_exception_fp_ieee_underflow 0
		.amdhsa_exception_fp_ieee_inexact 0
		.amdhsa_exception_int_div_zero 0
	.end_amdhsa_kernel
	.section	.text._ZN2at6native12_GLOBAL__N_131MultiMarginLoss_backward_kernelILi1EN3c104HalfEEEvPT0_PKS5_S8_PKlS8_iibS5_b,"axG",@progbits,_ZN2at6native12_GLOBAL__N_131MultiMarginLoss_backward_kernelILi1EN3c104HalfEEEvPT0_PKS5_S8_PKlS8_iibS5_b,comdat
.Lfunc_end12:
	.size	_ZN2at6native12_GLOBAL__N_131MultiMarginLoss_backward_kernelILi1EN3c104HalfEEEvPT0_PKS5_S8_PKlS8_iibS5_b, .Lfunc_end12-_ZN2at6native12_GLOBAL__N_131MultiMarginLoss_backward_kernelILi1EN3c104HalfEEEvPT0_PKS5_S8_PKlS8_iibS5_b
                                        ; -- End function
	.set _ZN2at6native12_GLOBAL__N_131MultiMarginLoss_backward_kernelILi1EN3c104HalfEEEvPT0_PKS5_S8_PKlS8_iibS5_b.num_vgpr, 14
	.set _ZN2at6native12_GLOBAL__N_131MultiMarginLoss_backward_kernelILi1EN3c104HalfEEEvPT0_PKS5_S8_PKlS8_iibS5_b.num_agpr, 0
	.set _ZN2at6native12_GLOBAL__N_131MultiMarginLoss_backward_kernelILi1EN3c104HalfEEEvPT0_PKS5_S8_PKlS8_iibS5_b.numbered_sgpr, 30
	.set _ZN2at6native12_GLOBAL__N_131MultiMarginLoss_backward_kernelILi1EN3c104HalfEEEvPT0_PKS5_S8_PKlS8_iibS5_b.num_named_barrier, 0
	.set _ZN2at6native12_GLOBAL__N_131MultiMarginLoss_backward_kernelILi1EN3c104HalfEEEvPT0_PKS5_S8_PKlS8_iibS5_b.private_seg_size, 0
	.set _ZN2at6native12_GLOBAL__N_131MultiMarginLoss_backward_kernelILi1EN3c104HalfEEEvPT0_PKS5_S8_PKlS8_iibS5_b.uses_vcc, 1
	.set _ZN2at6native12_GLOBAL__N_131MultiMarginLoss_backward_kernelILi1EN3c104HalfEEEvPT0_PKS5_S8_PKlS8_iibS5_b.uses_flat_scratch, 0
	.set _ZN2at6native12_GLOBAL__N_131MultiMarginLoss_backward_kernelILi1EN3c104HalfEEEvPT0_PKS5_S8_PKlS8_iibS5_b.has_dyn_sized_stack, 0
	.set _ZN2at6native12_GLOBAL__N_131MultiMarginLoss_backward_kernelILi1EN3c104HalfEEEvPT0_PKS5_S8_PKlS8_iibS5_b.has_recursion, 0
	.set _ZN2at6native12_GLOBAL__N_131MultiMarginLoss_backward_kernelILi1EN3c104HalfEEEvPT0_PKS5_S8_PKlS8_iibS5_b.has_indirect_call, 0
	.section	.AMDGPU.csdata,"",@progbits
; Kernel info:
; codeLenInByte = 1072
; TotalNumSgprs: 32
; NumVgprs: 14
; ScratchSize: 0
; MemoryBound: 0
; FloatMode: 240
; IeeeMode: 1
; LDSByteSize: 512 bytes/workgroup (compile time only)
; SGPRBlocks: 0
; VGPRBlocks: 0
; NumSGPRsForWavesPerEU: 32
; NumVGPRsForWavesPerEU: 14
; NamedBarCnt: 0
; Occupancy: 16
; WaveLimiterHint : 1
; COMPUTE_PGM_RSRC2:SCRATCH_EN: 0
; COMPUTE_PGM_RSRC2:USER_SGPR: 2
; COMPUTE_PGM_RSRC2:TRAP_HANDLER: 0
; COMPUTE_PGM_RSRC2:TGID_X_EN: 1
; COMPUTE_PGM_RSRC2:TGID_Y_EN: 0
; COMPUTE_PGM_RSRC2:TGID_Z_EN: 0
; COMPUTE_PGM_RSRC2:TIDIG_COMP_CNT: 0
	.section	.text._ZN2at6native12_GLOBAL__N_131MultiMarginLoss_backward_kernelILi2EN3c104HalfEEEvPT0_PKS5_S8_PKlS8_iibS5_b,"axG",@progbits,_ZN2at6native12_GLOBAL__N_131MultiMarginLoss_backward_kernelILi2EN3c104HalfEEEvPT0_PKS5_S8_PKlS8_iibS5_b,comdat
	.globl	_ZN2at6native12_GLOBAL__N_131MultiMarginLoss_backward_kernelILi2EN3c104HalfEEEvPT0_PKS5_S8_PKlS8_iibS5_b ; -- Begin function _ZN2at6native12_GLOBAL__N_131MultiMarginLoss_backward_kernelILi2EN3c104HalfEEEvPT0_PKS5_S8_PKlS8_iibS5_b
	.p2align	8
	.type	_ZN2at6native12_GLOBAL__N_131MultiMarginLoss_backward_kernelILi2EN3c104HalfEEEvPT0_PKS5_S8_PKlS8_iibS5_b,@function
_ZN2at6native12_GLOBAL__N_131MultiMarginLoss_backward_kernelILi2EN3c104HalfEEEvPT0_PKS5_S8_PKlS8_iibS5_b: ; @_ZN2at6native12_GLOBAL__N_131MultiMarginLoss_backward_kernelILi2EN3c104HalfEEEvPT0_PKS5_S8_PKlS8_iibS5_b
; %bb.0:
	s_clause 0x2
	s_load_b64 s[22:23], s[0:1], 0x30
	s_load_b256 s[4:11], s[0:1], 0x0
	s_load_b32 s24, s[0:1], 0x44
	s_getreg_b32 s12, hwreg(HW_REG_IB_STS2, 6, 4)
	v_dual_mov_b32 v3, 0 :: v_dual_lshlrev_b32 v1, 2, v0
	v_lshlrev_b32_e32 v2, 1, v0
	s_mov_b32 s15, 0
	s_wait_kmcnt 0x0
	s_bitcmp1_b32 s23, 0
	s_cselect_b32 s23, -1, 0
	s_bfe_u32 s2, ttmp6, 0x4000c
	s_and_b32 s3, ttmp6, 15
	s_add_co_i32 s2, s2, 1
	s_delay_alu instid0(SALU_CYCLE_1) | instskip(NEXT) | instid1(SALU_CYCLE_1)
	s_mul_i32 s2, ttmp9, s2
	s_add_co_i32 s3, s3, s2
	s_cmp_eq_u32 s12, 0
	s_load_b96 s[12:14], s[0:1], 0x28
	s_cselect_b32 s2, ttmp9, s3
	s_delay_alu instid0(SALU_CYCLE_1) | instskip(NEXT) | instid1(SALU_CYCLE_1)
	s_ashr_i32 s3, s2, 31
	s_lshl_b64 s[16:17], s[2:3], 3
	s_delay_alu instid0(SALU_CYCLE_1)
	s_add_nc_u64 s[10:11], s[10:11], s[16:17]
	s_load_b64 s[18:19], s[10:11], 0x0
	s_load_b64 s[20:21], s[0:1], 0x20
	ds_store_b32 v1, v3
	s_wait_kmcnt 0x0
	v_cmp_gt_i32_e64 s0, s13, v0
	s_mul_i32 s10, s13, s2
	s_delay_alu instid0(SALU_CYCLE_1)
	s_ashr_i32 s11, s10, 31
	s_bfe_i64 s[16:17], s[18:19], 0x200000
	s_and_b32 s19, s24, 0xffff
	s_and_saveexec_b32 s1, s0
	s_cbranch_execz .LBB13_11
; %bb.1:
	s_bitcmp1_b32 s14, 0
	v_mov_b32_e32 v11, v0
	s_cselect_b32 s14, -1, 0
	s_lshl_b64 s[24:25], s[10:11], 1
	s_lshl_b64 s[26:27], s[16:17], 1
	s_add_nc_u64 s[28:29], s[8:9], s[24:25]
	s_and_b32 s14, s14, s23
	s_add_nc_u64 s[28:29], s[28:29], s[26:27]
	s_lshr_b32 s22, s22, 16
	global_load_u16 v6, v3, s[28:29]
	s_and_b32 s14, s14, exec_lo
	s_cselect_b32 s12, s12, 1
	s_cmp_lg_u64 s[20:21], 0
	s_mul_i32 s12, s12, s13
	s_add_nc_u64 s[20:21], s[20:21], s[26:27]
	s_cvt_f32_i32 s12, s12
	s_delay_alu instid0(SALU_CYCLE_3) | instskip(SKIP_1) | instid1(VALU_DEP_2)
	v_div_scale_f32 v4, null, s12, s12, 1.0
	v_div_scale_f32 v8, vcc_lo, 1.0, s12, 1.0
	v_rcp_f32_e32 v5, v4
	v_nop
	v_xor_b32_e32 v4, 0x80000000, v4
	s_delay_alu instid0(TRANS32_DEP_1) | instid1(VALU_DEP_1)
	v_fma_f32 v7, v4, v5, 1.0
	s_delay_alu instid0(VALU_DEP_1) | instskip(NEXT) | instid1(VALU_DEP_1)
	v_fmac_f32_e32 v5, v7, v5
	v_mul_f32_e32 v7, v8, v5
	s_delay_alu instid0(VALU_DEP_1) | instskip(NEXT) | instid1(VALU_DEP_1)
	v_fma_f32 v9, v4, v7, v8
	v_fmac_f32_e32 v7, v9, v5
	s_delay_alu instid0(VALU_DEP_1) | instskip(NEXT) | instid1(VALU_DEP_1)
	v_fmac_f32_e32 v8, v4, v7
	v_div_fmas_f32 v4, v8, v5, v7
	v_mov_b32_e32 v8, 0
	s_delay_alu instid0(VALU_DEP_2) | instskip(SKIP_3) | instid1(VALU_DEP_2)
	v_div_fixup_f32 v7, v4, s12, 1.0
	v_add_nc_u64_e32 v[4:5], s[24:25], v[2:3]
	s_cselect_b32 s12, -1, 0
	s_lshl_b32 s14, s19, 1
	v_add_f32_e32 v9, v7, v7
	s_wait_loadcnt 0x0
	v_sub_f16_e32 v10, s22, v6
	s_mov_b32 s22, s15
	s_branch .LBB13_5
.LBB13_2:                               ;   in Loop: Header=BB13_5 Depth=1
	s_delay_alu instid0(VALU_DEP_1) | instskip(NEXT) | instid1(VALU_DEP_1)
	v_cvt_f16_f32_e32 v12, v12
	v_cvt_f32_f16_e32 v13, v12
	global_store_b16 v[6:7], v12, off
	v_sub_f32_e32 v8, v8, v13
	ds_store_b32 v1, v8
.LBB13_3:                               ;   in Loop: Header=BB13_5 Depth=1
	s_wait_xcnt 0x0
	s_or_b32 exec_lo, exec_lo, s25
.LBB13_4:                               ;   in Loop: Header=BB13_5 Depth=1
	s_delay_alu instid0(SALU_CYCLE_1) | instskip(SKIP_2) | instid1(VALU_DEP_2)
	s_or_b32 exec_lo, exec_lo, s24
	v_add_nc_u32_e32 v11, s19, v11
	v_add_nc_u64_e32 v[4:5], s[14:15], v[4:5]
	v_cmp_le_i32_e32 vcc_lo, s13, v11
	s_or_b32 s22, vcc_lo, s22
	s_delay_alu instid0(SALU_CYCLE_1)
	s_and_not1_b32 exec_lo, exec_lo, s22
	s_cbranch_execz .LBB13_11
.LBB13_5:                               ; =>This Inner Loop Header: Depth=1
	s_mov_b32 s24, exec_lo
	v_cmpx_ne_u32_e64 s18, v11
	s_cbranch_execz .LBB13_4
; %bb.6:                                ;   in Loop: Header=BB13_5 Depth=1
	v_add_nc_u64_e32 v[6:7], s[8:9], v[4:5]
	s_mov_b32 s25, exec_lo
	global_load_u16 v6, v[6:7], off
	s_wait_loadcnt 0x0
	v_add_f16_e32 v12, v10, v6
	s_wait_xcnt 0x0
	v_add_nc_u64_e32 v[6:7], s[4:5], v[4:5]
	s_delay_alu instid0(VALU_DEP_2)
	v_cmpx_nlt_f16_e32 0, v12
	s_xor_b32 s25, exec_lo, s25
	s_cbranch_execz .LBB13_8
; %bb.7:                                ;   in Loop: Header=BB13_5 Depth=1
	global_store_b16 v[6:7], v3, off
                                        ; implicit-def: $vgpr6_vgpr7
                                        ; implicit-def: $vgpr12
.LBB13_8:                               ;   in Loop: Header=BB13_5 Depth=1
	s_wait_xcnt 0x0
	s_and_not1_saveexec_b32 s25, s25
	s_cbranch_execz .LBB13_3
; %bb.9:                                ;   in Loop: Header=BB13_5 Depth=1
	v_cvt_f32_f16_e32 v12, v12
	s_and_not1_b32 vcc_lo, exec_lo, s12
	s_delay_alu instid0(VALU_DEP_1)
	v_mul_f32_e32 v12, v9, v12
	s_cbranch_vccnz .LBB13_2
; %bb.10:                               ;   in Loop: Header=BB13_5 Depth=1
	global_load_u16 v13, v3, s[20:21]
	s_wait_loadcnt 0x0
	v_cvt_f32_f16_e32 v13, v13
	s_delay_alu instid0(VALU_DEP_1)
	v_mul_f32_e32 v12, v12, v13
	s_branch .LBB13_2
.LBB13_11:
	s_or_b32 exec_lo, exec_lo, s1
	s_delay_alu instid0(SALU_CYCLE_1)
	s_mov_b32 s1, exec_lo
	s_wait_storecnt_dscnt 0x0
	s_barrier_signal -1
	s_barrier_wait -1
	v_cmpx_eq_u32_e32 0, v0
	s_cbranch_execz .LBB13_22
; %bb.12:
	v_mov_b32_e32 v1, 0
	s_cmp_eq_u32 s19, 0
	s_cbranch_scc1 .LBB13_21
; %bb.13:
	s_cmp_lt_u32 s19, 8
	s_cbranch_scc1 .LBB13_17
; %bb.14:
	s_and_b32 s8, s19, 0xfff8
	s_mov_b32 s9, 0
	s_mov_b32 s12, 0
.LBB13_15:                              ; =>This Inner Loop Header: Depth=1
	v_mov_b32_e32 v3, s9
	s_add_co_i32 s12, s12, 8
	s_add_co_i32 s9, s9, 32
	s_cmp_eq_u32 s8, s12
	ds_load_b128 v[4:7], v3
	ds_load_b128 v[8:11], v3 offset:16
	s_wait_dscnt 0x1
	v_add_f32_e32 v1, v1, v4
	s_delay_alu instid0(VALU_DEP_1) | instskip(NEXT) | instid1(VALU_DEP_1)
	v_add_f32_e32 v1, v1, v5
	v_add_f32_e32 v1, v1, v6
	s_delay_alu instid0(VALU_DEP_1) | instskip(SKIP_1) | instid1(VALU_DEP_1)
	v_add_f32_e32 v1, v1, v7
	s_wait_dscnt 0x0
	v_add_f32_e32 v1, v1, v8
	s_delay_alu instid0(VALU_DEP_1) | instskip(NEXT) | instid1(VALU_DEP_1)
	v_add_f32_e32 v1, v1, v9
	v_add_f32_e32 v1, v1, v10
	s_delay_alu instid0(VALU_DEP_1)
	v_add_f32_e32 v1, v1, v11
	s_cbranch_scc0 .LBB13_15
; %bb.16:
	s_and_b32 s9, s19, 7
	s_delay_alu instid0(SALU_CYCLE_1)
	s_cmp_eq_u32 s9, 0
	s_cbranch_scc0 .LBB13_18
	s_branch .LBB13_20
.LBB13_17:
	s_mov_b32 s8, 0
	s_and_b32 s9, s19, 7
	s_delay_alu instid0(SALU_CYCLE_1)
	s_cmp_eq_u32 s9, 0
	s_cbranch_scc1 .LBB13_20
.LBB13_18:
	s_lshl_b32 s8, s8, 2
.LBB13_19:                              ; =>This Inner Loop Header: Depth=1
	s_delay_alu instid0(SALU_CYCLE_1)
	v_mov_b32_e32 v3, s8
	s_add_co_i32 s9, s9, -1
	s_add_co_i32 s8, s8, 4
	s_cmp_lg_u32 s9, 0
	ds_load_b32 v3, v3
	s_wait_dscnt 0x0
	v_add_f32_e32 v1, v1, v3
	s_cbranch_scc1 .LBB13_19
.LBB13_20:
	s_delay_alu instid0(VALU_DEP_1)
	v_cvt_f16_f32_e32 v1, v1
.LBB13_21:
	s_lshl_b64 s[8:9], s[10:11], 1
	v_mov_b32_e32 v3, 0
	s_add_nc_u64 s[8:9], s[4:5], s[8:9]
	s_lshl_b64 s[14:15], s[16:17], 1
	s_delay_alu instid0(SALU_CYCLE_1)
	s_add_nc_u64 s[8:9], s[8:9], s[14:15]
	global_store_b16 v3, v1, s[8:9]
.LBB13_22:
	s_wait_xcnt 0x0
	s_or_b32 exec_lo, exec_lo, s1
	s_wait_storecnt 0x0
	s_barrier_signal -1
	s_barrier_wait -1
	s_and_saveexec_b32 s1, s0
	s_cbranch_execz .LBB13_25
; %bb.23:
	s_and_b32 s0, s23, exec_lo
	v_mov_b32_e32 v3, 0
	s_cselect_b32 s1, 0, s3
	s_cselect_b32 s0, 0, s2
	s_lshl_b64 s[2:3], s[10:11], 1
	s_delay_alu instid0(SALU_CYCLE_1) | instskip(NEXT) | instid1(SALU_CYCLE_1)
	s_add_nc_u64 s[2:3], s[4:5], s[2:3]
	v_add_nc_u64_e32 v[4:5], s[2:3], v[2:3]
	s_lshl_b64 s[2:3], s[0:1], 1
	s_mov_b32 s1, 0
	s_add_nc_u64 s[2:3], s[6:7], s[2:3]
	s_lshl_b32 s0, s19, 1
	s_mov_b32 s4, s1
.LBB13_24:                              ; =>This Inner Loop Header: Depth=1
	global_load_u16 v1, v3, s[2:3]
	global_load_u16 v2, v[4:5], off
	v_add_nc_u32_e32 v0, s19, v0
	s_delay_alu instid0(VALU_DEP_1)
	v_cmp_le_i32_e32 vcc_lo, s13, v0
	s_or_b32 s4, vcc_lo, s4
	s_wait_loadcnt 0x0
	v_mul_f16_e32 v1, v1, v2
	global_store_b16 v[4:5], v1, off
	s_wait_xcnt 0x0
	v_add_nc_u64_e32 v[4:5], s[0:1], v[4:5]
	s_and_not1_b32 exec_lo, exec_lo, s4
	s_cbranch_execnz .LBB13_24
.LBB13_25:
	s_endpgm
	.section	.rodata,"a",@progbits
	.p2align	6, 0x0
	.amdhsa_kernel _ZN2at6native12_GLOBAL__N_131MultiMarginLoss_backward_kernelILi2EN3c104HalfEEEvPT0_PKS5_S8_PKlS8_iibS5_b
		.amdhsa_group_segment_fixed_size 512
		.amdhsa_private_segment_fixed_size 0
		.amdhsa_kernarg_size 312
		.amdhsa_user_sgpr_count 2
		.amdhsa_user_sgpr_dispatch_ptr 0
		.amdhsa_user_sgpr_queue_ptr 0
		.amdhsa_user_sgpr_kernarg_segment_ptr 1
		.amdhsa_user_sgpr_dispatch_id 0
		.amdhsa_user_sgpr_kernarg_preload_length 0
		.amdhsa_user_sgpr_kernarg_preload_offset 0
		.amdhsa_user_sgpr_private_segment_size 0
		.amdhsa_wavefront_size32 1
		.amdhsa_uses_dynamic_stack 0
		.amdhsa_enable_private_segment 0
		.amdhsa_system_sgpr_workgroup_id_x 1
		.amdhsa_system_sgpr_workgroup_id_y 0
		.amdhsa_system_sgpr_workgroup_id_z 0
		.amdhsa_system_sgpr_workgroup_info 0
		.amdhsa_system_vgpr_workitem_id 0
		.amdhsa_next_free_vgpr 14
		.amdhsa_next_free_sgpr 30
		.amdhsa_named_barrier_count 0
		.amdhsa_reserve_vcc 1
		.amdhsa_float_round_mode_32 0
		.amdhsa_float_round_mode_16_64 0
		.amdhsa_float_denorm_mode_32 3
		.amdhsa_float_denorm_mode_16_64 3
		.amdhsa_fp16_overflow 0
		.amdhsa_memory_ordered 1
		.amdhsa_forward_progress 1
		.amdhsa_inst_pref_size 9
		.amdhsa_round_robin_scheduling 0
		.amdhsa_exception_fp_ieee_invalid_op 0
		.amdhsa_exception_fp_denorm_src 0
		.amdhsa_exception_fp_ieee_div_zero 0
		.amdhsa_exception_fp_ieee_overflow 0
		.amdhsa_exception_fp_ieee_underflow 0
		.amdhsa_exception_fp_ieee_inexact 0
		.amdhsa_exception_int_div_zero 0
	.end_amdhsa_kernel
	.section	.text._ZN2at6native12_GLOBAL__N_131MultiMarginLoss_backward_kernelILi2EN3c104HalfEEEvPT0_PKS5_S8_PKlS8_iibS5_b,"axG",@progbits,_ZN2at6native12_GLOBAL__N_131MultiMarginLoss_backward_kernelILi2EN3c104HalfEEEvPT0_PKS5_S8_PKlS8_iibS5_b,comdat
.Lfunc_end13:
	.size	_ZN2at6native12_GLOBAL__N_131MultiMarginLoss_backward_kernelILi2EN3c104HalfEEEvPT0_PKS5_S8_PKlS8_iibS5_b, .Lfunc_end13-_ZN2at6native12_GLOBAL__N_131MultiMarginLoss_backward_kernelILi2EN3c104HalfEEEvPT0_PKS5_S8_PKlS8_iibS5_b
                                        ; -- End function
	.set _ZN2at6native12_GLOBAL__N_131MultiMarginLoss_backward_kernelILi2EN3c104HalfEEEvPT0_PKS5_S8_PKlS8_iibS5_b.num_vgpr, 14
	.set _ZN2at6native12_GLOBAL__N_131MultiMarginLoss_backward_kernelILi2EN3c104HalfEEEvPT0_PKS5_S8_PKlS8_iibS5_b.num_agpr, 0
	.set _ZN2at6native12_GLOBAL__N_131MultiMarginLoss_backward_kernelILi2EN3c104HalfEEEvPT0_PKS5_S8_PKlS8_iibS5_b.numbered_sgpr, 30
	.set _ZN2at6native12_GLOBAL__N_131MultiMarginLoss_backward_kernelILi2EN3c104HalfEEEvPT0_PKS5_S8_PKlS8_iibS5_b.num_named_barrier, 0
	.set _ZN2at6native12_GLOBAL__N_131MultiMarginLoss_backward_kernelILi2EN3c104HalfEEEvPT0_PKS5_S8_PKlS8_iibS5_b.private_seg_size, 0
	.set _ZN2at6native12_GLOBAL__N_131MultiMarginLoss_backward_kernelILi2EN3c104HalfEEEvPT0_PKS5_S8_PKlS8_iibS5_b.uses_vcc, 1
	.set _ZN2at6native12_GLOBAL__N_131MultiMarginLoss_backward_kernelILi2EN3c104HalfEEEvPT0_PKS5_S8_PKlS8_iibS5_b.uses_flat_scratch, 0
	.set _ZN2at6native12_GLOBAL__N_131MultiMarginLoss_backward_kernelILi2EN3c104HalfEEEvPT0_PKS5_S8_PKlS8_iibS5_b.has_dyn_sized_stack, 0
	.set _ZN2at6native12_GLOBAL__N_131MultiMarginLoss_backward_kernelILi2EN3c104HalfEEEvPT0_PKS5_S8_PKlS8_iibS5_b.has_recursion, 0
	.set _ZN2at6native12_GLOBAL__N_131MultiMarginLoss_backward_kernelILi2EN3c104HalfEEEvPT0_PKS5_S8_PKlS8_iibS5_b.has_indirect_call, 0
	.section	.AMDGPU.csdata,"",@progbits
; Kernel info:
; codeLenInByte = 1084
; TotalNumSgprs: 32
; NumVgprs: 14
; ScratchSize: 0
; MemoryBound: 0
; FloatMode: 240
; IeeeMode: 1
; LDSByteSize: 512 bytes/workgroup (compile time only)
; SGPRBlocks: 0
; VGPRBlocks: 0
; NumSGPRsForWavesPerEU: 32
; NumVGPRsForWavesPerEU: 14
; NamedBarCnt: 0
; Occupancy: 16
; WaveLimiterHint : 1
; COMPUTE_PGM_RSRC2:SCRATCH_EN: 0
; COMPUTE_PGM_RSRC2:USER_SGPR: 2
; COMPUTE_PGM_RSRC2:TRAP_HANDLER: 0
; COMPUTE_PGM_RSRC2:TGID_X_EN: 1
; COMPUTE_PGM_RSRC2:TGID_Y_EN: 0
; COMPUTE_PGM_RSRC2:TGID_Z_EN: 0
; COMPUTE_PGM_RSRC2:TIDIG_COMP_CNT: 0
	.section	.text._ZN2at6native12_GLOBAL__N_131MultiMarginLoss_backward_kernelILi1EN3c108BFloat16EEEvPT0_PKS5_S8_PKlS8_iibS5_b,"axG",@progbits,_ZN2at6native12_GLOBAL__N_131MultiMarginLoss_backward_kernelILi1EN3c108BFloat16EEEvPT0_PKS5_S8_PKlS8_iibS5_b,comdat
	.globl	_ZN2at6native12_GLOBAL__N_131MultiMarginLoss_backward_kernelILi1EN3c108BFloat16EEEvPT0_PKS5_S8_PKlS8_iibS5_b ; -- Begin function _ZN2at6native12_GLOBAL__N_131MultiMarginLoss_backward_kernelILi1EN3c108BFloat16EEEvPT0_PKS5_S8_PKlS8_iibS5_b
	.p2align	8
	.type	_ZN2at6native12_GLOBAL__N_131MultiMarginLoss_backward_kernelILi1EN3c108BFloat16EEEvPT0_PKS5_S8_PKlS8_iibS5_b,@function
_ZN2at6native12_GLOBAL__N_131MultiMarginLoss_backward_kernelILi1EN3c108BFloat16EEEvPT0_PKS5_S8_PKlS8_iibS5_b: ; @_ZN2at6native12_GLOBAL__N_131MultiMarginLoss_backward_kernelILi1EN3c108BFloat16EEEvPT0_PKS5_S8_PKlS8_iibS5_b
; %bb.0:
	s_clause 0x2
	s_load_b64 s[20:21], s[0:1], 0x30
	s_load_b256 s[4:11], s[0:1], 0x0
	s_load_b32 s25, s[0:1], 0x44
	s_getreg_b32 s12, hwreg(HW_REG_IB_STS2, 6, 4)
	v_dual_mov_b32 v3, 0 :: v_dual_lshlrev_b32 v1, 2, v0
	v_lshlrev_b32_e32 v2, 1, v0
	s_mov_b32 s15, 0
	s_wait_kmcnt 0x0
	s_bitcmp1_b32 s21, 0
	s_cselect_b32 s24, -1, 0
	s_bfe_u32 s2, ttmp6, 0x4000c
	s_and_b32 s3, ttmp6, 15
	s_add_co_i32 s2, s2, 1
	s_delay_alu instid0(SALU_CYCLE_1) | instskip(NEXT) | instid1(SALU_CYCLE_1)
	s_mul_i32 s2, ttmp9, s2
	s_add_co_i32 s3, s3, s2
	s_cmp_eq_u32 s12, 0
	s_load_b96 s[12:14], s[0:1], 0x28
	s_cselect_b32 s2, ttmp9, s3
	s_delay_alu instid0(SALU_CYCLE_1) | instskip(NEXT) | instid1(SALU_CYCLE_1)
	s_ashr_i32 s3, s2, 31
	s_lshl_b64 s[16:17], s[2:3], 3
	s_delay_alu instid0(SALU_CYCLE_1)
	s_add_nc_u64 s[10:11], s[10:11], s[16:17]
	s_load_b64 s[18:19], s[10:11], 0x0
	s_load_b64 s[22:23], s[0:1], 0x20
	ds_store_b32 v1, v3
	s_wait_kmcnt 0x0
	v_cmp_gt_i32_e64 s0, s13, v0
	s_mul_i32 s10, s13, s2
	s_delay_alu instid0(SALU_CYCLE_1)
	s_ashr_i32 s11, s10, 31
	s_bfe_i64 s[16:17], s[18:19], 0x200000
	s_and_b32 s19, s25, 0xffff
	s_and_saveexec_b32 s25, s0
	s_cbranch_execz .LBB14_9
; %bb.1:
	s_bitcmp1_b32 s14, 0
	s_pack_lh_b32_b16 s14, 0, s20
	s_cselect_b32 s1, -1, 0
	s_lshl_b64 s[26:27], s[10:11], 1
	s_and_b32 s1, s1, s24
	s_lshl_b64 s[28:29], s[16:17], 1
	s_and_b32 s1, s1, exec_lo
	s_cselect_b32 s1, s12, 1
	s_add_nc_u64 s[30:31], s[8:9], s[26:27]
	s_mul_i32 s1, s1, s13
	s_add_nc_u64 s[30:31], s[30:31], s[28:29]
	s_cvt_f32_i32 s1, s1
	s_load_u16 s12, s[30:31], 0x0
	s_add_nc_u64 s[20:21], s[22:23], s[28:29]
	s_delay_alu instid0(SALU_CYCLE_1) | instskip(SKIP_1) | instid1(VALU_DEP_2)
	v_div_scale_f32 v4, null, s1, s1, 1.0
	v_div_scale_f32 v7, vcc_lo, 1.0, s1, 1.0
	v_rcp_f32_e32 v5, v4
	v_nop
	v_xor_b32_e32 v4, 0x80000000, v4
	s_delay_alu instid0(TRANS32_DEP_1) | instid1(VALU_DEP_1)
	v_fma_f32 v6, v4, v5, 1.0
	s_wait_kmcnt 0x0
	s_lshl_b32 s12, s12, 16
	s_delay_alu instid0(VALU_DEP_1) | instskip(SKIP_1) | instid1(SALU_CYCLE_3)
	v_fmac_f32_e32 v5, v6, v5
	s_sub_f32 s12, s14, s12
	s_bfe_u32 s14, s12, 0x10010
	s_delay_alu instid0(VALU_DEP_1) | instskip(SKIP_1) | instid1(SALU_CYCLE_1)
	v_mul_f32_e32 v6, v7, v5
	s_add_co_i32 s14, s12, s14
	s_addk_co_i32 s14, 0x7fff
	s_delay_alu instid0(VALU_DEP_1) | instskip(SKIP_2) | instid1(VALU_DEP_1)
	v_fma_f32 v8, v4, v6, v7
	s_and_b32 s14, s14, 0xffff0000
	s_cmp_o_f32 s12, s12
	v_fmac_f32_e32 v6, v8, v5
	s_cselect_b32 s12, s14, 0x7fc00000
	s_cmp_lg_u64 s[22:23], 0
	s_mov_b32 s22, s15
	s_delay_alu instid0(VALU_DEP_1) | instskip(NEXT) | instid1(VALU_DEP_1)
	v_fmac_f32_e32 v7, v4, v6
	v_div_fmas_f32 v4, v7, v5, v6
	v_mov_b32_e32 v6, 0
	s_delay_alu instid0(VALU_DEP_2) | instskip(SKIP_3) | instid1(VALU_DEP_2)
	v_div_fixup_f32 v7, v4, s1, 1.0
	v_add_nc_u64_e32 v[4:5], s[26:27], v[2:3]
	s_cselect_b32 s26, -1, 0
	s_lshl_b32 s14, s19, 1
	v_readfirstlane_b32 s27, v7
	v_mov_b32_e32 v7, v0
	s_branch .LBB14_5
.LBB14_2:                               ;   in Loop: Header=BB14_5 Depth=1
	s_delay_alu instid0(SALU_CYCLE_2) | instskip(NEXT) | instid1(SALU_CYCLE_1)
	s_bfe_u32 s29, s28, 0x10010
	s_add_co_i32 s29, s28, s29
	s_delay_alu instid0(SALU_CYCLE_1) | instskip(NEXT) | instid1(SALU_CYCLE_1)
	s_addk_co_i32 s29, 0x7fff
	s_lshr_b32 s29, s29, 16
	s_cmp_o_f32 s28, s28
	s_cselect_b32 s28, s29, 0x7fc0
	s_delay_alu instid0(SALU_CYCLE_1) | instskip(NEXT) | instid1(SALU_CYCLE_1)
	s_lshl_b32 s29, s28, 16
	v_dual_mov_b32 v8, s28 :: v_dual_subrev_f32 v6, s29, v6
	ds_store_b32 v1, v6
.LBB14_3:                               ;   in Loop: Header=BB14_5 Depth=1
	s_wait_xcnt 0x0
	s_or_b32 exec_lo, exec_lo, s1
	v_add_nc_u64_e32 v[10:11], s[4:5], v[4:5]
	global_store_b16 v[10:11], v8, off
.LBB14_4:                               ;   in Loop: Header=BB14_5 Depth=1
	s_wait_xcnt 0x0
	s_or_b32 exec_lo, exec_lo, s23
	v_add_nc_u32_e32 v7, s19, v7
	v_add_nc_u64_e32 v[4:5], s[14:15], v[4:5]
	s_delay_alu instid0(VALU_DEP_2) | instskip(SKIP_1) | instid1(SALU_CYCLE_1)
	v_cmp_le_i32_e32 vcc_lo, s13, v7
	s_or_b32 s22, vcc_lo, s22
	s_and_not1_b32 exec_lo, exec_lo, s22
	s_cbranch_execz .LBB14_9
.LBB14_5:                               ; =>This Inner Loop Header: Depth=1
	s_mov_b32 s23, exec_lo
	s_delay_alu instid0(VALU_DEP_1)
	v_cmpx_ne_u32_e64 s18, v7
	s_cbranch_execz .LBB14_4
; %bb.6:                                ;   in Loop: Header=BB14_5 Depth=1
	v_add_nc_u64_e32 v[8:9], s[8:9], v[4:5]
	global_load_u16 v8, v[8:9], off
	s_wait_loadcnt 0x0
	s_wait_xcnt 0x0
	v_lshlrev_b32_e32 v8, 16, v8
	s_delay_alu instid0(VALU_DEP_1) | instskip(NEXT) | instid1(VALU_DEP_1)
	v_add_f32_e32 v8, s12, v8
	v_bfe_u32 v9, v8, 16, 1
	v_cmp_o_f32_e32 vcc_lo, v8, v8
	s_delay_alu instid0(VALU_DEP_2) | instskip(SKIP_1) | instid1(VALU_DEP_2)
	v_add3_u32 v9, v8, v9, 0x7fff
	v_mov_b32_e32 v8, 0
	v_and_b32_e32 v9, 0xffff0000, v9
	s_delay_alu instid0(VALU_DEP_1) | instskip(SKIP_1) | instid1(SALU_CYCLE_1)
	v_cmp_lt_f32_e64 s1, 0, v9
	s_and_b32 s28, vcc_lo, s1
	s_and_saveexec_b32 s1, s28
	s_cbranch_execz .LBB14_3
; %bb.7:                                ;   in Loop: Header=BB14_5 Depth=1
	s_and_not1_b32 vcc_lo, exec_lo, s26
	s_mov_b32 s28, s27
	s_cbranch_vccnz .LBB14_2
; %bb.8:                                ;   in Loop: Header=BB14_5 Depth=1
	global_load_u16 v8, v3, s[20:21]
	s_wait_loadcnt 0x0
	v_readfirstlane_b32 s28, v8
	s_lshl_b32 s28, s28, 16
	s_delay_alu instid0(SALU_CYCLE_1)
	s_mul_f32 s28, s27, s28
	s_branch .LBB14_2
.LBB14_9:
	s_or_b32 exec_lo, exec_lo, s25
	s_delay_alu instid0(SALU_CYCLE_1)
	s_mov_b32 s1, exec_lo
	s_wait_storecnt_dscnt 0x0
	s_barrier_signal -1
	s_barrier_wait -1
	v_cmpx_eq_u32_e32 0, v0
	s_cbranch_execz .LBB14_19
; %bb.10:
	v_mov_b32_e32 v1, 0
	s_cmp_eq_u32 s19, 0
	s_cbranch_scc1 .LBB14_18
; %bb.11:
	s_cmp_lt_u32 s19, 8
	s_cbranch_scc1 .LBB14_15
; %bb.12:
	s_and_b32 s8, s19, 0xfff8
	s_mov_b32 s9, 0
	s_mov_b32 s12, 0
.LBB14_13:                              ; =>This Inner Loop Header: Depth=1
	v_mov_b32_e32 v3, s9
	s_add_co_i32 s12, s12, 8
	s_add_co_i32 s9, s9, 32
	s_cmp_eq_u32 s8, s12
	ds_load_b128 v[4:7], v3
	ds_load_b128 v[8:11], v3 offset:16
	s_wait_dscnt 0x1
	v_add_f32_e32 v1, v1, v4
	s_delay_alu instid0(VALU_DEP_1) | instskip(NEXT) | instid1(VALU_DEP_1)
	v_add_f32_e32 v1, v1, v5
	v_add_f32_e32 v1, v1, v6
	s_delay_alu instid0(VALU_DEP_1) | instskip(SKIP_1) | instid1(VALU_DEP_1)
	v_add_f32_e32 v1, v1, v7
	s_wait_dscnt 0x0
	v_add_f32_e32 v1, v1, v8
	s_delay_alu instid0(VALU_DEP_1) | instskip(NEXT) | instid1(VALU_DEP_1)
	v_add_f32_e32 v1, v1, v9
	v_add_f32_e32 v1, v1, v10
	s_delay_alu instid0(VALU_DEP_1)
	v_add_f32_e32 v1, v1, v11
	s_cbranch_scc0 .LBB14_13
; %bb.14:
	s_and_b32 s9, s19, 7
	s_delay_alu instid0(SALU_CYCLE_1)
	s_cmp_eq_u32 s9, 0
	s_cbranch_scc0 .LBB14_16
	s_branch .LBB14_18
.LBB14_15:
	s_mov_b32 s8, 0
	s_and_b32 s9, s19, 7
	s_delay_alu instid0(SALU_CYCLE_1)
	s_cmp_eq_u32 s9, 0
	s_cbranch_scc1 .LBB14_18
.LBB14_16:
	s_lshl_b32 s8, s8, 2
.LBB14_17:                              ; =>This Inner Loop Header: Depth=1
	s_delay_alu instid0(SALU_CYCLE_1)
	v_mov_b32_e32 v3, s8
	s_add_co_i32 s9, s9, -1
	s_add_co_i32 s8, s8, 4
	s_cmp_lg_u32 s9, 0
	ds_load_b32 v3, v3
	s_wait_dscnt 0x0
	v_add_f32_e32 v1, v1, v3
	s_cbranch_scc1 .LBB14_17
.LBB14_18:
	s_delay_alu instid0(VALU_DEP_1)
	v_bfe_u32 v3, v1, 16, 1
	v_cmp_o_f32_e32 vcc_lo, v1, v1
	s_lshl_b64 s[8:9], s[10:11], 1
	s_lshl_b64 s[14:15], s[16:17], 1
	s_add_nc_u64 s[8:9], s[4:5], s[8:9]
	v_add_nc_u32_e32 v3, v1, v3
	s_add_nc_u64 s[8:9], s[8:9], s[14:15]
	s_delay_alu instid0(VALU_DEP_1) | instskip(NEXT) | instid1(VALU_DEP_1)
	v_add_nc_u32_e32 v3, 0x7fff, v3
	v_lshrrev_b32_e32 v3, 16, v3
	s_delay_alu instid0(VALU_DEP_1)
	v_cndmask_b32_e32 v1, 0x7fc0, v3, vcc_lo
	v_mov_b32_e32 v3, 0
	global_store_b16 v3, v1, s[8:9]
.LBB14_19:
	s_wait_xcnt 0x0
	s_or_b32 exec_lo, exec_lo, s1
	s_wait_storecnt 0x0
	s_barrier_signal -1
	s_barrier_wait -1
	s_and_saveexec_b32 s1, s0
	s_cbranch_execz .LBB14_22
; %bb.20:
	s_and_b32 s0, s24, exec_lo
	v_mov_b32_e32 v3, 0
	s_cselect_b32 s1, 0, s3
	s_cselect_b32 s0, 0, s2
	s_lshl_b64 s[2:3], s[10:11], 1
	s_delay_alu instid0(SALU_CYCLE_1) | instskip(NEXT) | instid1(SALU_CYCLE_1)
	s_add_nc_u64 s[2:3], s[4:5], s[2:3]
	v_add_nc_u64_e32 v[4:5], s[2:3], v[2:3]
	s_lshl_b64 s[2:3], s[0:1], 1
	s_mov_b32 s1, 0
	s_add_nc_u64 s[2:3], s[6:7], s[2:3]
	s_lshl_b32 s0, s19, 1
	s_mov_b32 s4, s1
.LBB14_21:                              ; =>This Inner Loop Header: Depth=1
	global_load_u16 v1, v3, s[2:3]
	global_load_u16 v2, v[4:5], off
	s_wait_loadcnt 0x1
	v_dual_add_nc_u32 v0, s19, v0 :: v_dual_lshlrev_b32 v1, 16, v1
	s_wait_loadcnt 0x0
	v_lshlrev_b32_e32 v2, 16, v2
	s_delay_alu instid0(VALU_DEP_1) | instskip(NEXT) | instid1(VALU_DEP_1)
	v_mul_f32_e32 v1, v2, v1
	v_bfe_u32 v2, v1, 16, 1
	s_delay_alu instid0(VALU_DEP_1) | instskip(NEXT) | instid1(VALU_DEP_1)
	v_add3_u32 v2, v1, v2, 0x7fff
	v_lshrrev_b32_e32 v2, 16, v2
	v_cmp_o_f32_e32 vcc_lo, v1, v1
	s_delay_alu instid0(VALU_DEP_2)
	v_cndmask_b32_e32 v1, 0x7fc0, v2, vcc_lo
	v_cmp_le_i32_e32 vcc_lo, s13, v0
	global_store_b16 v[4:5], v1, off
	s_wait_xcnt 0x0
	v_add_nc_u64_e32 v[4:5], s[0:1], v[4:5]
	s_or_b32 s4, vcc_lo, s4
	s_delay_alu instid0(SALU_CYCLE_1)
	s_and_not1_b32 exec_lo, exec_lo, s4
	s_cbranch_execnz .LBB14_21
.LBB14_22:
	s_endpgm
	.section	.rodata,"a",@progbits
	.p2align	6, 0x0
	.amdhsa_kernel _ZN2at6native12_GLOBAL__N_131MultiMarginLoss_backward_kernelILi1EN3c108BFloat16EEEvPT0_PKS5_S8_PKlS8_iibS5_b
		.amdhsa_group_segment_fixed_size 512
		.amdhsa_private_segment_fixed_size 0
		.amdhsa_kernarg_size 312
		.amdhsa_user_sgpr_count 2
		.amdhsa_user_sgpr_dispatch_ptr 0
		.amdhsa_user_sgpr_queue_ptr 0
		.amdhsa_user_sgpr_kernarg_segment_ptr 1
		.amdhsa_user_sgpr_dispatch_id 0
		.amdhsa_user_sgpr_kernarg_preload_length 0
		.amdhsa_user_sgpr_kernarg_preload_offset 0
		.amdhsa_user_sgpr_private_segment_size 0
		.amdhsa_wavefront_size32 1
		.amdhsa_uses_dynamic_stack 0
		.amdhsa_enable_private_segment 0
		.amdhsa_system_sgpr_workgroup_id_x 1
		.amdhsa_system_sgpr_workgroup_id_y 0
		.amdhsa_system_sgpr_workgroup_id_z 0
		.amdhsa_system_sgpr_workgroup_info 0
		.amdhsa_system_vgpr_workitem_id 0
		.amdhsa_next_free_vgpr 12
		.amdhsa_next_free_sgpr 32
		.amdhsa_named_barrier_count 0
		.amdhsa_reserve_vcc 1
		.amdhsa_float_round_mode_32 0
		.amdhsa_float_round_mode_16_64 0
		.amdhsa_float_denorm_mode_32 3
		.amdhsa_float_denorm_mode_16_64 3
		.amdhsa_fp16_overflow 0
		.amdhsa_memory_ordered 1
		.amdhsa_forward_progress 1
		.amdhsa_inst_pref_size 11
		.amdhsa_round_robin_scheduling 0
		.amdhsa_exception_fp_ieee_invalid_op 0
		.amdhsa_exception_fp_denorm_src 0
		.amdhsa_exception_fp_ieee_div_zero 0
		.amdhsa_exception_fp_ieee_overflow 0
		.amdhsa_exception_fp_ieee_underflow 0
		.amdhsa_exception_fp_ieee_inexact 0
		.amdhsa_exception_int_div_zero 0
	.end_amdhsa_kernel
	.section	.text._ZN2at6native12_GLOBAL__N_131MultiMarginLoss_backward_kernelILi1EN3c108BFloat16EEEvPT0_PKS5_S8_PKlS8_iibS5_b,"axG",@progbits,_ZN2at6native12_GLOBAL__N_131MultiMarginLoss_backward_kernelILi1EN3c108BFloat16EEEvPT0_PKS5_S8_PKlS8_iibS5_b,comdat
.Lfunc_end14:
	.size	_ZN2at6native12_GLOBAL__N_131MultiMarginLoss_backward_kernelILi1EN3c108BFloat16EEEvPT0_PKS5_S8_PKlS8_iibS5_b, .Lfunc_end14-_ZN2at6native12_GLOBAL__N_131MultiMarginLoss_backward_kernelILi1EN3c108BFloat16EEEvPT0_PKS5_S8_PKlS8_iibS5_b
                                        ; -- End function
	.set _ZN2at6native12_GLOBAL__N_131MultiMarginLoss_backward_kernelILi1EN3c108BFloat16EEEvPT0_PKS5_S8_PKlS8_iibS5_b.num_vgpr, 12
	.set _ZN2at6native12_GLOBAL__N_131MultiMarginLoss_backward_kernelILi1EN3c108BFloat16EEEvPT0_PKS5_S8_PKlS8_iibS5_b.num_agpr, 0
	.set _ZN2at6native12_GLOBAL__N_131MultiMarginLoss_backward_kernelILi1EN3c108BFloat16EEEvPT0_PKS5_S8_PKlS8_iibS5_b.numbered_sgpr, 32
	.set _ZN2at6native12_GLOBAL__N_131MultiMarginLoss_backward_kernelILi1EN3c108BFloat16EEEvPT0_PKS5_S8_PKlS8_iibS5_b.num_named_barrier, 0
	.set _ZN2at6native12_GLOBAL__N_131MultiMarginLoss_backward_kernelILi1EN3c108BFloat16EEEvPT0_PKS5_S8_PKlS8_iibS5_b.private_seg_size, 0
	.set _ZN2at6native12_GLOBAL__N_131MultiMarginLoss_backward_kernelILi1EN3c108BFloat16EEEvPT0_PKS5_S8_PKlS8_iibS5_b.uses_vcc, 1
	.set _ZN2at6native12_GLOBAL__N_131MultiMarginLoss_backward_kernelILi1EN3c108BFloat16EEEvPT0_PKS5_S8_PKlS8_iibS5_b.uses_flat_scratch, 0
	.set _ZN2at6native12_GLOBAL__N_131MultiMarginLoss_backward_kernelILi1EN3c108BFloat16EEEvPT0_PKS5_S8_PKlS8_iibS5_b.has_dyn_sized_stack, 0
	.set _ZN2at6native12_GLOBAL__N_131MultiMarginLoss_backward_kernelILi1EN3c108BFloat16EEEvPT0_PKS5_S8_PKlS8_iibS5_b.has_recursion, 0
	.set _ZN2at6native12_GLOBAL__N_131MultiMarginLoss_backward_kernelILi1EN3c108BFloat16EEEvPT0_PKS5_S8_PKlS8_iibS5_b.has_indirect_call, 0
	.section	.AMDGPU.csdata,"",@progbits
; Kernel info:
; codeLenInByte = 1296
; TotalNumSgprs: 34
; NumVgprs: 12
; ScratchSize: 0
; MemoryBound: 0
; FloatMode: 240
; IeeeMode: 1
; LDSByteSize: 512 bytes/workgroup (compile time only)
; SGPRBlocks: 0
; VGPRBlocks: 0
; NumSGPRsForWavesPerEU: 34
; NumVGPRsForWavesPerEU: 12
; NamedBarCnt: 0
; Occupancy: 16
; WaveLimiterHint : 1
; COMPUTE_PGM_RSRC2:SCRATCH_EN: 0
; COMPUTE_PGM_RSRC2:USER_SGPR: 2
; COMPUTE_PGM_RSRC2:TRAP_HANDLER: 0
; COMPUTE_PGM_RSRC2:TGID_X_EN: 1
; COMPUTE_PGM_RSRC2:TGID_Y_EN: 0
; COMPUTE_PGM_RSRC2:TGID_Z_EN: 0
; COMPUTE_PGM_RSRC2:TIDIG_COMP_CNT: 0
	.section	.text._ZN2at6native12_GLOBAL__N_131MultiMarginLoss_backward_kernelILi2EN3c108BFloat16EEEvPT0_PKS5_S8_PKlS8_iibS5_b,"axG",@progbits,_ZN2at6native12_GLOBAL__N_131MultiMarginLoss_backward_kernelILi2EN3c108BFloat16EEEvPT0_PKS5_S8_PKlS8_iibS5_b,comdat
	.globl	_ZN2at6native12_GLOBAL__N_131MultiMarginLoss_backward_kernelILi2EN3c108BFloat16EEEvPT0_PKS5_S8_PKlS8_iibS5_b ; -- Begin function _ZN2at6native12_GLOBAL__N_131MultiMarginLoss_backward_kernelILi2EN3c108BFloat16EEEvPT0_PKS5_S8_PKlS8_iibS5_b
	.p2align	8
	.type	_ZN2at6native12_GLOBAL__N_131MultiMarginLoss_backward_kernelILi2EN3c108BFloat16EEEvPT0_PKS5_S8_PKlS8_iibS5_b,@function
_ZN2at6native12_GLOBAL__N_131MultiMarginLoss_backward_kernelILi2EN3c108BFloat16EEEvPT0_PKS5_S8_PKlS8_iibS5_b: ; @_ZN2at6native12_GLOBAL__N_131MultiMarginLoss_backward_kernelILi2EN3c108BFloat16EEEvPT0_PKS5_S8_PKlS8_iibS5_b
; %bb.0:
	s_clause 0x2
	s_load_b64 s[20:21], s[0:1], 0x30
	s_load_b256 s[4:11], s[0:1], 0x0
	s_load_b32 s25, s[0:1], 0x44
	s_getreg_b32 s12, hwreg(HW_REG_IB_STS2, 6, 4)
	v_dual_mov_b32 v3, 0 :: v_dual_lshlrev_b32 v1, 2, v0
	v_lshlrev_b32_e32 v2, 1, v0
	s_mov_b32 s15, 0
	s_wait_kmcnt 0x0
	s_bitcmp1_b32 s21, 0
	s_cselect_b32 s24, -1, 0
	s_bfe_u32 s2, ttmp6, 0x4000c
	s_and_b32 s3, ttmp6, 15
	s_add_co_i32 s2, s2, 1
	s_delay_alu instid0(SALU_CYCLE_1) | instskip(NEXT) | instid1(SALU_CYCLE_1)
	s_mul_i32 s2, ttmp9, s2
	s_add_co_i32 s3, s3, s2
	s_cmp_eq_u32 s12, 0
	s_load_b96 s[12:14], s[0:1], 0x28
	s_cselect_b32 s2, ttmp9, s3
	s_delay_alu instid0(SALU_CYCLE_1) | instskip(NEXT) | instid1(SALU_CYCLE_1)
	s_ashr_i32 s3, s2, 31
	s_lshl_b64 s[16:17], s[2:3], 3
	s_delay_alu instid0(SALU_CYCLE_1)
	s_add_nc_u64 s[10:11], s[10:11], s[16:17]
	s_load_b64 s[18:19], s[10:11], 0x0
	s_load_b64 s[22:23], s[0:1], 0x20
	ds_store_b32 v1, v3
	s_wait_kmcnt 0x0
	v_cmp_gt_i32_e64 s0, s13, v0
	s_mul_i32 s10, s13, s2
	s_delay_alu instid0(SALU_CYCLE_1)
	s_ashr_i32 s11, s10, 31
	s_bfe_i64 s[16:17], s[18:19], 0x200000
	s_and_b32 s19, s25, 0xffff
	s_and_saveexec_b32 s1, s0
	s_cbranch_execz .LBB15_9
; %bb.1:
	s_bitcmp1_b32 s14, 0
	s_pack_lh_b32_b16 s20, 0, s20
	s_cselect_b32 s14, -1, 0
	s_lshl_b64 s[26:27], s[10:11], 1
	s_and_b32 s14, s14, s24
	s_lshl_b64 s[28:29], s[16:17], 1
	s_and_b32 s14, s14, exec_lo
	s_cselect_b32 s12, s12, 1
	s_add_nc_u64 s[30:31], s[8:9], s[26:27]
	s_mul_i32 s12, s12, s13
	s_add_nc_u64 s[30:31], s[30:31], s[28:29]
	s_cvt_f32_i32 s14, s12
	s_load_u16 s12, s[30:31], 0x0
	s_delay_alu instid0(SALU_CYCLE_2) | instskip(SKIP_1) | instid1(VALU_DEP_2)
	v_div_scale_f32 v4, null, s14, s14, 1.0
	v_div_scale_f32 v7, vcc_lo, 1.0, s14, 1.0
	v_rcp_f32_e32 v5, v4
	v_nop
	v_xor_b32_e32 v4, 0x80000000, v4
	s_delay_alu instid0(TRANS32_DEP_1) | instid1(VALU_DEP_1)
	v_fma_f32 v6, v4, v5, 1.0
	s_wait_kmcnt 0x0
	s_lshl_b32 s12, s12, 16
	s_delay_alu instid0(VALU_DEP_1) | instskip(SKIP_1) | instid1(VALU_DEP_1)
	v_fmac_f32_e32 v5, v6, v5
	s_sub_f32 s12, s20, s12
	v_mul_f32_e32 v6, v7, v5
	s_delay_alu instid0(SALU_CYCLE_2) | instskip(NEXT) | instid1(SALU_CYCLE_1)
	s_bfe_u32 s20, s12, 0x10010
	s_add_co_i32 s20, s12, s20
	s_delay_alu instid0(VALU_DEP_1) | instskip(SKIP_1) | instid1(SALU_CYCLE_1)
	v_fma_f32 v8, v4, v6, v7
	s_addk_co_i32 s20, 0x7fff
	s_and_b32 s20, s20, 0xffff0000
	s_cmp_o_f32 s12, s12
	s_delay_alu instid0(VALU_DEP_1) | instskip(SKIP_3) | instid1(VALU_DEP_2)
	v_fmac_f32_e32 v6, v8, v5
	v_mov_b32_e32 v8, v0
	s_cselect_b32 s12, s20, 0x7fc00000
	s_cmp_lg_u64 s[22:23], 0
	v_fmac_f32_e32 v7, v4, v6
	s_cselect_b32 s25, -1, 0
	s_add_nc_u64 s[20:21], s[22:23], s[28:29]
	s_mov_b32 s22, s15
	s_delay_alu instid0(VALU_DEP_1) | instskip(SKIP_1) | instid1(VALU_DEP_2)
	v_div_fmas_f32 v4, v7, v5, v6
	v_mov_b32_e32 v6, 0
	v_div_fixup_f32 v7, v4, s14, 1.0
	v_add_nc_u64_e32 v[4:5], s[26:27], v[2:3]
	s_lshl_b32 s14, s19, 1
	s_delay_alu instid0(VALU_DEP_2)
	v_add_f32_e32 v7, v7, v7
	s_branch .LBB15_5
.LBB15_2:                               ;   in Loop: Header=BB15_5 Depth=1
	s_delay_alu instid0(VALU_DEP_1) | instskip(SKIP_1) | instid1(VALU_DEP_2)
	v_bfe_u32 v10, v9, 16, 1
	v_cmp_o_f32_e32 vcc_lo, v9, v9
	v_add3_u32 v10, v9, v10, 0x7fff
	s_delay_alu instid0(VALU_DEP_1) | instskip(NEXT) | instid1(VALU_DEP_1)
	v_lshrrev_b32_e32 v10, 16, v10
	v_cndmask_b32_e32 v9, 0x7fc0, v10, vcc_lo
	s_delay_alu instid0(VALU_DEP_1) | instskip(NEXT) | instid1(VALU_DEP_1)
	v_lshlrev_b32_e32 v10, 16, v9
	v_sub_f32_e32 v6, v6, v10
	ds_store_b32 v1, v6
.LBB15_3:                               ;   in Loop: Header=BB15_5 Depth=1
	s_wait_xcnt 0x0
	s_or_b32 exec_lo, exec_lo, s26
	v_add_nc_u64_e32 v[10:11], s[4:5], v[4:5]
	global_store_b16 v[10:11], v9, off
.LBB15_4:                               ;   in Loop: Header=BB15_5 Depth=1
	s_wait_xcnt 0x0
	s_or_b32 exec_lo, exec_lo, s23
	v_add_nc_u32_e32 v8, s19, v8
	v_add_nc_u64_e32 v[4:5], s[14:15], v[4:5]
	s_delay_alu instid0(VALU_DEP_2) | instskip(SKIP_1) | instid1(SALU_CYCLE_1)
	v_cmp_le_i32_e32 vcc_lo, s13, v8
	s_or_b32 s22, vcc_lo, s22
	s_and_not1_b32 exec_lo, exec_lo, s22
	s_cbranch_execz .LBB15_9
.LBB15_5:                               ; =>This Inner Loop Header: Depth=1
	s_mov_b32 s23, exec_lo
	v_cmpx_ne_u32_e64 s18, v8
	s_cbranch_execz .LBB15_4
; %bb.6:                                ;   in Loop: Header=BB15_5 Depth=1
	v_add_nc_u64_e32 v[10:11], s[8:9], v[4:5]
	s_mov_b32 s26, exec_lo
	global_load_u16 v9, v[10:11], off
	s_wait_loadcnt 0x0
	v_lshlrev_b32_e32 v9, 16, v9
	s_delay_alu instid0(VALU_DEP_1) | instskip(SKIP_1) | instid1(VALU_DEP_1)
	v_add_f32_e32 v9, s12, v9
	s_wait_xcnt 0x0
	v_bfe_u32 v10, v9, 16, 1
	v_cmp_o_f32_e32 vcc_lo, v9, v9
	s_delay_alu instid0(VALU_DEP_2) | instskip(SKIP_1) | instid1(VALU_DEP_2)
	v_add3_u32 v10, v9, v10, 0x7fff
	v_mov_b32_e32 v9, 0
	v_and_b32_e32 v10, 0xffff0000, v10
	s_delay_alu instid0(VALU_DEP_1) | instskip(NEXT) | instid1(VALU_DEP_1)
	v_cndmask_b32_e32 v10, 0x7fc00000, v10, vcc_lo
	v_cmpx_lt_f32_e32 0, v10
	s_cbranch_execz .LBB15_3
; %bb.7:                                ;   in Loop: Header=BB15_5 Depth=1
	v_mul_f32_e32 v9, v7, v10
	s_and_not1_b32 vcc_lo, exec_lo, s25
	s_cbranch_vccnz .LBB15_2
; %bb.8:                                ;   in Loop: Header=BB15_5 Depth=1
	global_load_u16 v10, v3, s[20:21]
	s_wait_loadcnt 0x0
	v_lshlrev_b32_e32 v10, 16, v10
	s_delay_alu instid0(VALU_DEP_1)
	v_mul_f32_e32 v9, v9, v10
	s_branch .LBB15_2
.LBB15_9:
	s_or_b32 exec_lo, exec_lo, s1
	s_delay_alu instid0(SALU_CYCLE_1)
	s_mov_b32 s1, exec_lo
	s_wait_storecnt_dscnt 0x0
	s_barrier_signal -1
	s_barrier_wait -1
	v_cmpx_eq_u32_e32 0, v0
	s_cbranch_execz .LBB15_19
; %bb.10:
	v_mov_b32_e32 v1, 0
	s_cmp_eq_u32 s19, 0
	s_cbranch_scc1 .LBB15_18
; %bb.11:
	s_cmp_lt_u32 s19, 8
	s_cbranch_scc1 .LBB15_15
; %bb.12:
	s_and_b32 s8, s19, 0xfff8
	s_mov_b32 s9, 0
	s_mov_b32 s12, 0
.LBB15_13:                              ; =>This Inner Loop Header: Depth=1
	v_mov_b32_e32 v3, s9
	s_add_co_i32 s12, s12, 8
	s_add_co_i32 s9, s9, 32
	s_cmp_eq_u32 s8, s12
	ds_load_b128 v[4:7], v3
	ds_load_b128 v[8:11], v3 offset:16
	s_wait_dscnt 0x1
	v_add_f32_e32 v1, v1, v4
	s_delay_alu instid0(VALU_DEP_1) | instskip(NEXT) | instid1(VALU_DEP_1)
	v_add_f32_e32 v1, v1, v5
	v_add_f32_e32 v1, v1, v6
	s_delay_alu instid0(VALU_DEP_1) | instskip(SKIP_1) | instid1(VALU_DEP_1)
	v_add_f32_e32 v1, v1, v7
	s_wait_dscnt 0x0
	v_add_f32_e32 v1, v1, v8
	s_delay_alu instid0(VALU_DEP_1) | instskip(NEXT) | instid1(VALU_DEP_1)
	v_add_f32_e32 v1, v1, v9
	v_add_f32_e32 v1, v1, v10
	s_delay_alu instid0(VALU_DEP_1)
	v_add_f32_e32 v1, v1, v11
	s_cbranch_scc0 .LBB15_13
; %bb.14:
	s_and_b32 s9, s19, 7
	s_delay_alu instid0(SALU_CYCLE_1)
	s_cmp_eq_u32 s9, 0
	s_cbranch_scc0 .LBB15_16
	s_branch .LBB15_18
.LBB15_15:
	s_mov_b32 s8, 0
	s_and_b32 s9, s19, 7
	s_delay_alu instid0(SALU_CYCLE_1)
	s_cmp_eq_u32 s9, 0
	s_cbranch_scc1 .LBB15_18
.LBB15_16:
	s_lshl_b32 s8, s8, 2
.LBB15_17:                              ; =>This Inner Loop Header: Depth=1
	s_delay_alu instid0(SALU_CYCLE_1)
	v_mov_b32_e32 v3, s8
	s_add_co_i32 s9, s9, -1
	s_add_co_i32 s8, s8, 4
	s_cmp_lg_u32 s9, 0
	ds_load_b32 v3, v3
	s_wait_dscnt 0x0
	v_add_f32_e32 v1, v1, v3
	s_cbranch_scc1 .LBB15_17
.LBB15_18:
	s_delay_alu instid0(VALU_DEP_1)
	v_bfe_u32 v3, v1, 16, 1
	v_cmp_o_f32_e32 vcc_lo, v1, v1
	s_lshl_b64 s[8:9], s[10:11], 1
	s_lshl_b64 s[14:15], s[16:17], 1
	s_add_nc_u64 s[8:9], s[4:5], s[8:9]
	v_add_nc_u32_e32 v3, v1, v3
	s_add_nc_u64 s[8:9], s[8:9], s[14:15]
	s_delay_alu instid0(VALU_DEP_1) | instskip(NEXT) | instid1(VALU_DEP_1)
	v_add_nc_u32_e32 v3, 0x7fff, v3
	v_lshrrev_b32_e32 v3, 16, v3
	s_delay_alu instid0(VALU_DEP_1)
	v_cndmask_b32_e32 v1, 0x7fc0, v3, vcc_lo
	v_mov_b32_e32 v3, 0
	global_store_b16 v3, v1, s[8:9]
.LBB15_19:
	s_wait_xcnt 0x0
	s_or_b32 exec_lo, exec_lo, s1
	s_wait_storecnt 0x0
	s_barrier_signal -1
	s_barrier_wait -1
	s_and_saveexec_b32 s1, s0
	s_cbranch_execz .LBB15_22
; %bb.20:
	s_and_b32 s0, s24, exec_lo
	v_mov_b32_e32 v3, 0
	s_cselect_b32 s1, 0, s3
	s_cselect_b32 s0, 0, s2
	s_lshl_b64 s[2:3], s[10:11], 1
	s_delay_alu instid0(SALU_CYCLE_1) | instskip(NEXT) | instid1(SALU_CYCLE_1)
	s_add_nc_u64 s[2:3], s[4:5], s[2:3]
	v_add_nc_u64_e32 v[4:5], s[2:3], v[2:3]
	s_lshl_b64 s[2:3], s[0:1], 1
	s_mov_b32 s1, 0
	s_add_nc_u64 s[2:3], s[6:7], s[2:3]
	s_lshl_b32 s0, s19, 1
	s_mov_b32 s4, s1
.LBB15_21:                              ; =>This Inner Loop Header: Depth=1
	global_load_u16 v1, v3, s[2:3]
	global_load_u16 v2, v[4:5], off
	s_wait_loadcnt 0x1
	v_dual_add_nc_u32 v0, s19, v0 :: v_dual_lshlrev_b32 v1, 16, v1
	s_wait_loadcnt 0x0
	v_lshlrev_b32_e32 v2, 16, v2
	s_delay_alu instid0(VALU_DEP_1) | instskip(NEXT) | instid1(VALU_DEP_1)
	v_mul_f32_e32 v1, v2, v1
	v_bfe_u32 v2, v1, 16, 1
	s_delay_alu instid0(VALU_DEP_1) | instskip(NEXT) | instid1(VALU_DEP_1)
	v_add3_u32 v2, v1, v2, 0x7fff
	v_lshrrev_b32_e32 v2, 16, v2
	v_cmp_o_f32_e32 vcc_lo, v1, v1
	s_delay_alu instid0(VALU_DEP_2)
	v_cndmask_b32_e32 v1, 0x7fc0, v2, vcc_lo
	v_cmp_le_i32_e32 vcc_lo, s13, v0
	global_store_b16 v[4:5], v1, off
	s_wait_xcnt 0x0
	v_add_nc_u64_e32 v[4:5], s[0:1], v[4:5]
	s_or_b32 s4, vcc_lo, s4
	s_delay_alu instid0(SALU_CYCLE_1)
	s_and_not1_b32 exec_lo, exec_lo, s4
	s_cbranch_execnz .LBB15_21
.LBB15_22:
	s_endpgm
	.section	.rodata,"a",@progbits
	.p2align	6, 0x0
	.amdhsa_kernel _ZN2at6native12_GLOBAL__N_131MultiMarginLoss_backward_kernelILi2EN3c108BFloat16EEEvPT0_PKS5_S8_PKlS8_iibS5_b
		.amdhsa_group_segment_fixed_size 512
		.amdhsa_private_segment_fixed_size 0
		.amdhsa_kernarg_size 312
		.amdhsa_user_sgpr_count 2
		.amdhsa_user_sgpr_dispatch_ptr 0
		.amdhsa_user_sgpr_queue_ptr 0
		.amdhsa_user_sgpr_kernarg_segment_ptr 1
		.amdhsa_user_sgpr_dispatch_id 0
		.amdhsa_user_sgpr_kernarg_preload_length 0
		.amdhsa_user_sgpr_kernarg_preload_offset 0
		.amdhsa_user_sgpr_private_segment_size 0
		.amdhsa_wavefront_size32 1
		.amdhsa_uses_dynamic_stack 0
		.amdhsa_enable_private_segment 0
		.amdhsa_system_sgpr_workgroup_id_x 1
		.amdhsa_system_sgpr_workgroup_id_y 0
		.amdhsa_system_sgpr_workgroup_id_z 0
		.amdhsa_system_sgpr_workgroup_info 0
		.amdhsa_system_vgpr_workitem_id 0
		.amdhsa_next_free_vgpr 12
		.amdhsa_next_free_sgpr 32
		.amdhsa_named_barrier_count 0
		.amdhsa_reserve_vcc 1
		.amdhsa_float_round_mode_32 0
		.amdhsa_float_round_mode_16_64 0
		.amdhsa_float_denorm_mode_32 3
		.amdhsa_float_denorm_mode_16_64 3
		.amdhsa_fp16_overflow 0
		.amdhsa_memory_ordered 1
		.amdhsa_forward_progress 1
		.amdhsa_inst_pref_size 11
		.amdhsa_round_robin_scheduling 0
		.amdhsa_exception_fp_ieee_invalid_op 0
		.amdhsa_exception_fp_denorm_src 0
		.amdhsa_exception_fp_ieee_div_zero 0
		.amdhsa_exception_fp_ieee_overflow 0
		.amdhsa_exception_fp_ieee_underflow 0
		.amdhsa_exception_fp_ieee_inexact 0
		.amdhsa_exception_int_div_zero 0
	.end_amdhsa_kernel
	.section	.text._ZN2at6native12_GLOBAL__N_131MultiMarginLoss_backward_kernelILi2EN3c108BFloat16EEEvPT0_PKS5_S8_PKlS8_iibS5_b,"axG",@progbits,_ZN2at6native12_GLOBAL__N_131MultiMarginLoss_backward_kernelILi2EN3c108BFloat16EEEvPT0_PKS5_S8_PKlS8_iibS5_b,comdat
.Lfunc_end15:
	.size	_ZN2at6native12_GLOBAL__N_131MultiMarginLoss_backward_kernelILi2EN3c108BFloat16EEEvPT0_PKS5_S8_PKlS8_iibS5_b, .Lfunc_end15-_ZN2at6native12_GLOBAL__N_131MultiMarginLoss_backward_kernelILi2EN3c108BFloat16EEEvPT0_PKS5_S8_PKlS8_iibS5_b
                                        ; -- End function
	.set _ZN2at6native12_GLOBAL__N_131MultiMarginLoss_backward_kernelILi2EN3c108BFloat16EEEvPT0_PKS5_S8_PKlS8_iibS5_b.num_vgpr, 12
	.set _ZN2at6native12_GLOBAL__N_131MultiMarginLoss_backward_kernelILi2EN3c108BFloat16EEEvPT0_PKS5_S8_PKlS8_iibS5_b.num_agpr, 0
	.set _ZN2at6native12_GLOBAL__N_131MultiMarginLoss_backward_kernelILi2EN3c108BFloat16EEEvPT0_PKS5_S8_PKlS8_iibS5_b.numbered_sgpr, 32
	.set _ZN2at6native12_GLOBAL__N_131MultiMarginLoss_backward_kernelILi2EN3c108BFloat16EEEvPT0_PKS5_S8_PKlS8_iibS5_b.num_named_barrier, 0
	.set _ZN2at6native12_GLOBAL__N_131MultiMarginLoss_backward_kernelILi2EN3c108BFloat16EEEvPT0_PKS5_S8_PKlS8_iibS5_b.private_seg_size, 0
	.set _ZN2at6native12_GLOBAL__N_131MultiMarginLoss_backward_kernelILi2EN3c108BFloat16EEEvPT0_PKS5_S8_PKlS8_iibS5_b.uses_vcc, 1
	.set _ZN2at6native12_GLOBAL__N_131MultiMarginLoss_backward_kernelILi2EN3c108BFloat16EEEvPT0_PKS5_S8_PKlS8_iibS5_b.uses_flat_scratch, 0
	.set _ZN2at6native12_GLOBAL__N_131MultiMarginLoss_backward_kernelILi2EN3c108BFloat16EEEvPT0_PKS5_S8_PKlS8_iibS5_b.has_dyn_sized_stack, 0
	.set _ZN2at6native12_GLOBAL__N_131MultiMarginLoss_backward_kernelILi2EN3c108BFloat16EEEvPT0_PKS5_S8_PKlS8_iibS5_b.has_recursion, 0
	.set _ZN2at6native12_GLOBAL__N_131MultiMarginLoss_backward_kernelILi2EN3c108BFloat16EEEvPT0_PKS5_S8_PKlS8_iibS5_b.has_indirect_call, 0
	.section	.AMDGPU.csdata,"",@progbits
; Kernel info:
; codeLenInByte = 1288
; TotalNumSgprs: 34
; NumVgprs: 12
; ScratchSize: 0
; MemoryBound: 0
; FloatMode: 240
; IeeeMode: 1
; LDSByteSize: 512 bytes/workgroup (compile time only)
; SGPRBlocks: 0
; VGPRBlocks: 0
; NumSGPRsForWavesPerEU: 34
; NumVGPRsForWavesPerEU: 12
; NamedBarCnt: 0
; Occupancy: 16
; WaveLimiterHint : 1
; COMPUTE_PGM_RSRC2:SCRATCH_EN: 0
; COMPUTE_PGM_RSRC2:USER_SGPR: 2
; COMPUTE_PGM_RSRC2:TRAP_HANDLER: 0
; COMPUTE_PGM_RSRC2:TGID_X_EN: 1
; COMPUTE_PGM_RSRC2:TGID_Y_EN: 0
; COMPUTE_PGM_RSRC2:TGID_Z_EN: 0
; COMPUTE_PGM_RSRC2:TIDIG_COMP_CNT: 0
	.section	.AMDGPU.gpr_maximums,"",@progbits
	.set amdgpu.max_num_vgpr, 0
	.set amdgpu.max_num_agpr, 0
	.set amdgpu.max_num_sgpr, 0
	.section	.AMDGPU.csdata,"",@progbits
	.type	.str,@object                    ; @.str
	.section	.rodata.str1.1,"aMS",@progbits,1
.str:
	.asciz	"target index is out of bounds"
	.size	.str, 30

	.type	__hip_cuid_115a72f777e1d266,@object ; @__hip_cuid_115a72f777e1d266
	.section	.bss,"aw",@nobits
	.globl	__hip_cuid_115a72f777e1d266
__hip_cuid_115a72f777e1d266:
	.byte	0                               ; 0x0
	.size	__hip_cuid_115a72f777e1d266, 1

	.ident	"AMD clang version 22.0.0git (https://github.com/RadeonOpenCompute/llvm-project roc-7.2.4 26084 f58b06dce1f9c15707c5f808fd002e18c2accf7e)"
	.section	".note.GNU-stack","",@progbits
	.addrsig
	.addrsig_sym __hip_cuid_115a72f777e1d266
	.amdgpu_metadata
---
amdhsa.kernels:
  - .args:
      - .address_space:  global
        .offset:         0
        .size:           8
        .value_kind:     global_buffer
      - .address_space:  global
        .offset:         8
        .size:           8
        .value_kind:     global_buffer
      - .address_space:  global
        .offset:         16
        .size:           8
        .value_kind:     global_buffer
      - .address_space:  global
        .offset:         24
        .size:           8
        .value_kind:     global_buffer
      - .offset:         32
        .size:           4
        .value_kind:     by_value
      - .offset:         36
        .size:           4
        .value_kind:     by_value
      - .offset:         40
        .size:           1
        .value_kind:     by_value
      - .offset:         48
        .size:           8
        .value_kind:     by_value
      - .offset:         56
        .size:           4
        .value_kind:     hidden_block_count_x
      - .offset:         60
        .size:           4
        .value_kind:     hidden_block_count_y
      - .offset:         64
        .size:           4
        .value_kind:     hidden_block_count_z
      - .offset:         68
        .size:           2
        .value_kind:     hidden_group_size_x
      - .offset:         70
        .size:           2
        .value_kind:     hidden_group_size_y
      - .offset:         72
        .size:           2
        .value_kind:     hidden_group_size_z
      - .offset:         74
        .size:           2
        .value_kind:     hidden_remainder_x
      - .offset:         76
        .size:           2
        .value_kind:     hidden_remainder_y
      - .offset:         78
        .size:           2
        .value_kind:     hidden_remainder_z
      - .offset:         96
        .size:           8
        .value_kind:     hidden_global_offset_x
      - .offset:         104
        .size:           8
        .value_kind:     hidden_global_offset_y
      - .offset:         112
        .size:           8
        .value_kind:     hidden_global_offset_z
      - .offset:         120
        .size:           2
        .value_kind:     hidden_grid_dims
    .group_segment_fixed_size: 1024
    .kernarg_segment_align: 8
    .kernarg_segment_size: 312
    .language:       OpenCL C
    .language_version:
      - 2
      - 0
    .max_flat_workgroup_size: 1024
    .name:           _ZN2at6native12_GLOBAL__N_130MultiMarginLoss_forward_kernelILi1EdEEvPT0_PKS3_PKlS6_iibS3_
    .private_segment_fixed_size: 0
    .sgpr_count:     30
    .sgpr_spill_count: 0
    .symbol:         _ZN2at6native12_GLOBAL__N_130MultiMarginLoss_forward_kernelILi1EdEEvPT0_PKS3_PKlS6_iibS3_.kd
    .uniform_work_group_size: 1
    .uses_dynamic_stack: false
    .vgpr_count:     12
    .vgpr_spill_count: 0
    .wavefront_size: 32
  - .args:
      - .address_space:  global
        .offset:         0
        .size:           8
        .value_kind:     global_buffer
      - .address_space:  global
        .offset:         8
        .size:           8
        .value_kind:     global_buffer
      - .address_space:  global
        .offset:         16
        .size:           8
        .value_kind:     global_buffer
      - .address_space:  global
        .offset:         24
        .size:           8
        .value_kind:     global_buffer
      - .offset:         32
        .size:           4
        .value_kind:     by_value
      - .offset:         36
        .size:           4
        .value_kind:     by_value
      - .offset:         40
        .size:           1
        .value_kind:     by_value
      - .offset:         48
        .size:           8
        .value_kind:     by_value
      - .offset:         56
        .size:           4
        .value_kind:     hidden_block_count_x
      - .offset:         60
        .size:           4
        .value_kind:     hidden_block_count_y
      - .offset:         64
        .size:           4
        .value_kind:     hidden_block_count_z
      - .offset:         68
        .size:           2
        .value_kind:     hidden_group_size_x
      - .offset:         70
        .size:           2
        .value_kind:     hidden_group_size_y
      - .offset:         72
        .size:           2
        .value_kind:     hidden_group_size_z
      - .offset:         74
        .size:           2
        .value_kind:     hidden_remainder_x
      - .offset:         76
        .size:           2
        .value_kind:     hidden_remainder_y
      - .offset:         78
        .size:           2
        .value_kind:     hidden_remainder_z
      - .offset:         96
        .size:           8
        .value_kind:     hidden_global_offset_x
      - .offset:         104
        .size:           8
        .value_kind:     hidden_global_offset_y
      - .offset:         112
        .size:           8
        .value_kind:     hidden_global_offset_z
      - .offset:         120
        .size:           2
        .value_kind:     hidden_grid_dims
    .group_segment_fixed_size: 1024
    .kernarg_segment_align: 8
    .kernarg_segment_size: 312
    .language:       OpenCL C
    .language_version:
      - 2
      - 0
    .max_flat_workgroup_size: 1024
    .name:           _ZN2at6native12_GLOBAL__N_130MultiMarginLoss_forward_kernelILi2EdEEvPT0_PKS3_PKlS6_iibS3_
    .private_segment_fixed_size: 0
    .sgpr_count:     30
    .sgpr_spill_count: 0
    .symbol:         _ZN2at6native12_GLOBAL__N_130MultiMarginLoss_forward_kernelILi2EdEEvPT0_PKS3_PKlS6_iibS3_.kd
    .uniform_work_group_size: 1
    .uses_dynamic_stack: false
    .vgpr_count:     12
    .vgpr_spill_count: 0
    .wavefront_size: 32
  - .args:
      - .address_space:  global
        .offset:         0
        .size:           8
        .value_kind:     global_buffer
      - .address_space:  global
        .offset:         8
        .size:           8
        .value_kind:     global_buffer
      - .address_space:  global
        .offset:         16
        .size:           8
        .value_kind:     global_buffer
      - .address_space:  global
        .offset:         24
        .size:           8
        .value_kind:     global_buffer
      - .offset:         32
        .size:           4
        .value_kind:     by_value
      - .offset:         36
        .size:           4
        .value_kind:     by_value
      - .offset:         40
        .size:           1
        .value_kind:     by_value
      - .offset:         44
        .size:           4
        .value_kind:     by_value
      - .offset:         48
        .size:           4
        .value_kind:     hidden_block_count_x
      - .offset:         52
        .size:           4
        .value_kind:     hidden_block_count_y
      - .offset:         56
        .size:           4
        .value_kind:     hidden_block_count_z
      - .offset:         60
        .size:           2
        .value_kind:     hidden_group_size_x
      - .offset:         62
        .size:           2
        .value_kind:     hidden_group_size_y
      - .offset:         64
        .size:           2
        .value_kind:     hidden_group_size_z
      - .offset:         66
        .size:           2
        .value_kind:     hidden_remainder_x
      - .offset:         68
        .size:           2
        .value_kind:     hidden_remainder_y
      - .offset:         70
        .size:           2
        .value_kind:     hidden_remainder_z
      - .offset:         88
        .size:           8
        .value_kind:     hidden_global_offset_x
      - .offset:         96
        .size:           8
        .value_kind:     hidden_global_offset_y
      - .offset:         104
        .size:           8
        .value_kind:     hidden_global_offset_z
      - .offset:         112
        .size:           2
        .value_kind:     hidden_grid_dims
    .group_segment_fixed_size: 512
    .kernarg_segment_align: 8
    .kernarg_segment_size: 304
    .language:       OpenCL C
    .language_version:
      - 2
      - 0
    .max_flat_workgroup_size: 1024
    .name:           _ZN2at6native12_GLOBAL__N_130MultiMarginLoss_forward_kernelILi1EfEEvPT0_PKS3_PKlS6_iibS3_
    .private_segment_fixed_size: 0
    .sgpr_count:     24
    .sgpr_spill_count: 0
    .symbol:         _ZN2at6native12_GLOBAL__N_130MultiMarginLoss_forward_kernelILi1EfEEvPT0_PKS3_PKlS6_iibS3_.kd
    .uniform_work_group_size: 1
    .uses_dynamic_stack: false
    .vgpr_count:     10
    .vgpr_spill_count: 0
    .wavefront_size: 32
  - .args:
      - .address_space:  global
        .offset:         0
        .size:           8
        .value_kind:     global_buffer
      - .address_space:  global
        .offset:         8
        .size:           8
        .value_kind:     global_buffer
      - .address_space:  global
        .offset:         16
        .size:           8
        .value_kind:     global_buffer
      - .address_space:  global
        .offset:         24
        .size:           8
        .value_kind:     global_buffer
      - .offset:         32
        .size:           4
        .value_kind:     by_value
      - .offset:         36
        .size:           4
        .value_kind:     by_value
      - .offset:         40
        .size:           1
        .value_kind:     by_value
      - .offset:         44
        .size:           4
        .value_kind:     by_value
      - .offset:         48
        .size:           4
        .value_kind:     hidden_block_count_x
      - .offset:         52
        .size:           4
        .value_kind:     hidden_block_count_y
      - .offset:         56
        .size:           4
        .value_kind:     hidden_block_count_z
      - .offset:         60
        .size:           2
        .value_kind:     hidden_group_size_x
      - .offset:         62
        .size:           2
        .value_kind:     hidden_group_size_y
      - .offset:         64
        .size:           2
        .value_kind:     hidden_group_size_z
      - .offset:         66
        .size:           2
        .value_kind:     hidden_remainder_x
      - .offset:         68
        .size:           2
        .value_kind:     hidden_remainder_y
      - .offset:         70
        .size:           2
        .value_kind:     hidden_remainder_z
      - .offset:         88
        .size:           8
        .value_kind:     hidden_global_offset_x
      - .offset:         96
        .size:           8
        .value_kind:     hidden_global_offset_y
      - .offset:         104
        .size:           8
        .value_kind:     hidden_global_offset_z
      - .offset:         112
        .size:           2
        .value_kind:     hidden_grid_dims
    .group_segment_fixed_size: 512
    .kernarg_segment_align: 8
    .kernarg_segment_size: 304
    .language:       OpenCL C
    .language_version:
      - 2
      - 0
    .max_flat_workgroup_size: 1024
    .name:           _ZN2at6native12_GLOBAL__N_130MultiMarginLoss_forward_kernelILi2EfEEvPT0_PKS3_PKlS6_iibS3_
    .private_segment_fixed_size: 0
    .sgpr_count:     24
    .sgpr_spill_count: 0
    .symbol:         _ZN2at6native12_GLOBAL__N_130MultiMarginLoss_forward_kernelILi2EfEEvPT0_PKS3_PKlS6_iibS3_.kd
    .uniform_work_group_size: 1
    .uses_dynamic_stack: false
    .vgpr_count:     10
    .vgpr_spill_count: 0
    .wavefront_size: 32
  - .args:
      - .address_space:  global
        .offset:         0
        .size:           8
        .value_kind:     global_buffer
      - .address_space:  global
        .offset:         8
        .size:           8
        .value_kind:     global_buffer
      - .address_space:  global
        .offset:         16
        .size:           8
        .value_kind:     global_buffer
      - .address_space:  global
        .offset:         24
        .size:           8
        .value_kind:     global_buffer
      - .offset:         32
        .size:           4
        .value_kind:     by_value
      - .offset:         36
        .size:           4
        .value_kind:     by_value
      - .offset:         40
        .size:           1
        .value_kind:     by_value
      - .offset:         42
        .size:           2
        .value_kind:     by_value
      - .offset:         48
        .size:           4
        .value_kind:     hidden_block_count_x
      - .offset:         52
        .size:           4
        .value_kind:     hidden_block_count_y
      - .offset:         56
        .size:           4
        .value_kind:     hidden_block_count_z
      - .offset:         60
        .size:           2
        .value_kind:     hidden_group_size_x
      - .offset:         62
        .size:           2
        .value_kind:     hidden_group_size_y
      - .offset:         64
        .size:           2
        .value_kind:     hidden_group_size_z
      - .offset:         66
        .size:           2
        .value_kind:     hidden_remainder_x
      - .offset:         68
        .size:           2
        .value_kind:     hidden_remainder_y
      - .offset:         70
        .size:           2
        .value_kind:     hidden_remainder_z
      - .offset:         88
        .size:           8
        .value_kind:     hidden_global_offset_x
      - .offset:         96
        .size:           8
        .value_kind:     hidden_global_offset_y
      - .offset:         104
        .size:           8
        .value_kind:     hidden_global_offset_z
      - .offset:         112
        .size:           2
        .value_kind:     hidden_grid_dims
    .group_segment_fixed_size: 512
    .kernarg_segment_align: 8
    .kernarg_segment_size: 304
    .language:       OpenCL C
    .language_version:
      - 2
      - 0
    .max_flat_workgroup_size: 1024
    .name:           _ZN2at6native12_GLOBAL__N_130MultiMarginLoss_forward_kernelILi1EN3c104HalfEEEvPT0_PKS5_PKlS8_iibS5_
    .private_segment_fixed_size: 0
    .sgpr_count:     22
    .sgpr_spill_count: 0
    .symbol:         _ZN2at6native12_GLOBAL__N_130MultiMarginLoss_forward_kernelILi1EN3c104HalfEEEvPT0_PKS5_PKlS8_iibS5_.kd
    .uniform_work_group_size: 1
    .uses_dynamic_stack: false
    .vgpr_count:     10
    .vgpr_spill_count: 0
    .wavefront_size: 32
  - .args:
      - .address_space:  global
        .offset:         0
        .size:           8
        .value_kind:     global_buffer
      - .address_space:  global
        .offset:         8
        .size:           8
        .value_kind:     global_buffer
      - .address_space:  global
        .offset:         16
        .size:           8
        .value_kind:     global_buffer
      - .address_space:  global
        .offset:         24
        .size:           8
        .value_kind:     global_buffer
      - .offset:         32
        .size:           4
        .value_kind:     by_value
      - .offset:         36
        .size:           4
        .value_kind:     by_value
      - .offset:         40
        .size:           1
        .value_kind:     by_value
      - .offset:         42
        .size:           2
        .value_kind:     by_value
      - .offset:         48
        .size:           4
        .value_kind:     hidden_block_count_x
      - .offset:         52
        .size:           4
        .value_kind:     hidden_block_count_y
      - .offset:         56
        .size:           4
        .value_kind:     hidden_block_count_z
      - .offset:         60
        .size:           2
        .value_kind:     hidden_group_size_x
      - .offset:         62
        .size:           2
        .value_kind:     hidden_group_size_y
      - .offset:         64
        .size:           2
        .value_kind:     hidden_group_size_z
      - .offset:         66
        .size:           2
        .value_kind:     hidden_remainder_x
      - .offset:         68
        .size:           2
        .value_kind:     hidden_remainder_y
      - .offset:         70
        .size:           2
        .value_kind:     hidden_remainder_z
      - .offset:         88
        .size:           8
        .value_kind:     hidden_global_offset_x
      - .offset:         96
        .size:           8
        .value_kind:     hidden_global_offset_y
      - .offset:         104
        .size:           8
        .value_kind:     hidden_global_offset_z
      - .offset:         112
        .size:           2
        .value_kind:     hidden_grid_dims
    .group_segment_fixed_size: 512
    .kernarg_segment_align: 8
    .kernarg_segment_size: 304
    .language:       OpenCL C
    .language_version:
      - 2
      - 0
    .max_flat_workgroup_size: 1024
    .name:           _ZN2at6native12_GLOBAL__N_130MultiMarginLoss_forward_kernelILi2EN3c104HalfEEEvPT0_PKS5_PKlS8_iibS5_
    .private_segment_fixed_size: 0
    .sgpr_count:     22
    .sgpr_spill_count: 0
    .symbol:         _ZN2at6native12_GLOBAL__N_130MultiMarginLoss_forward_kernelILi2EN3c104HalfEEEvPT0_PKS5_PKlS8_iibS5_.kd
    .uniform_work_group_size: 1
    .uses_dynamic_stack: false
    .vgpr_count:     10
    .vgpr_spill_count: 0
    .wavefront_size: 32
  - .args:
      - .address_space:  global
        .offset:         0
        .size:           8
        .value_kind:     global_buffer
      - .address_space:  global
        .offset:         8
        .size:           8
        .value_kind:     global_buffer
      - .address_space:  global
        .offset:         16
        .size:           8
        .value_kind:     global_buffer
      - .address_space:  global
        .offset:         24
        .size:           8
        .value_kind:     global_buffer
      - .offset:         32
        .size:           4
        .value_kind:     by_value
      - .offset:         36
        .size:           4
        .value_kind:     by_value
      - .offset:         40
        .size:           1
        .value_kind:     by_value
      - .offset:         42
        .size:           2
        .value_kind:     by_value
      - .offset:         48
        .size:           4
        .value_kind:     hidden_block_count_x
      - .offset:         52
        .size:           4
        .value_kind:     hidden_block_count_y
      - .offset:         56
        .size:           4
        .value_kind:     hidden_block_count_z
      - .offset:         60
        .size:           2
        .value_kind:     hidden_group_size_x
      - .offset:         62
        .size:           2
        .value_kind:     hidden_group_size_y
      - .offset:         64
        .size:           2
        .value_kind:     hidden_group_size_z
      - .offset:         66
        .size:           2
        .value_kind:     hidden_remainder_x
      - .offset:         68
        .size:           2
        .value_kind:     hidden_remainder_y
      - .offset:         70
        .size:           2
        .value_kind:     hidden_remainder_z
      - .offset:         88
        .size:           8
        .value_kind:     hidden_global_offset_x
      - .offset:         96
        .size:           8
        .value_kind:     hidden_global_offset_y
      - .offset:         104
        .size:           8
        .value_kind:     hidden_global_offset_z
      - .offset:         112
        .size:           2
        .value_kind:     hidden_grid_dims
    .group_segment_fixed_size: 512
    .kernarg_segment_align: 8
    .kernarg_segment_size: 304
    .language:       OpenCL C
    .language_version:
      - 2
      - 0
    .max_flat_workgroup_size: 1024
    .name:           _ZN2at6native12_GLOBAL__N_130MultiMarginLoss_forward_kernelILi1EN3c108BFloat16EEEvPT0_PKS5_PKlS8_iibS5_
    .private_segment_fixed_size: 0
    .sgpr_count:     23
    .sgpr_spill_count: 0
    .symbol:         _ZN2at6native12_GLOBAL__N_130MultiMarginLoss_forward_kernelILi1EN3c108BFloat16EEEvPT0_PKS5_PKlS8_iibS5_.kd
    .uniform_work_group_size: 1
    .uses_dynamic_stack: false
    .vgpr_count:     10
    .vgpr_spill_count: 0
    .wavefront_size: 32
  - .args:
      - .address_space:  global
        .offset:         0
        .size:           8
        .value_kind:     global_buffer
      - .address_space:  global
        .offset:         8
        .size:           8
        .value_kind:     global_buffer
      - .address_space:  global
        .offset:         16
        .size:           8
        .value_kind:     global_buffer
      - .address_space:  global
        .offset:         24
        .size:           8
        .value_kind:     global_buffer
      - .offset:         32
        .size:           4
        .value_kind:     by_value
      - .offset:         36
        .size:           4
        .value_kind:     by_value
      - .offset:         40
        .size:           1
        .value_kind:     by_value
      - .offset:         42
        .size:           2
        .value_kind:     by_value
      - .offset:         48
        .size:           4
        .value_kind:     hidden_block_count_x
      - .offset:         52
        .size:           4
        .value_kind:     hidden_block_count_y
      - .offset:         56
        .size:           4
        .value_kind:     hidden_block_count_z
      - .offset:         60
        .size:           2
        .value_kind:     hidden_group_size_x
      - .offset:         62
        .size:           2
        .value_kind:     hidden_group_size_y
      - .offset:         64
        .size:           2
        .value_kind:     hidden_group_size_z
      - .offset:         66
        .size:           2
        .value_kind:     hidden_remainder_x
      - .offset:         68
        .size:           2
        .value_kind:     hidden_remainder_y
      - .offset:         70
        .size:           2
        .value_kind:     hidden_remainder_z
      - .offset:         88
        .size:           8
        .value_kind:     hidden_global_offset_x
      - .offset:         96
        .size:           8
        .value_kind:     hidden_global_offset_y
      - .offset:         104
        .size:           8
        .value_kind:     hidden_global_offset_z
      - .offset:         112
        .size:           2
        .value_kind:     hidden_grid_dims
    .group_segment_fixed_size: 512
    .kernarg_segment_align: 8
    .kernarg_segment_size: 304
    .language:       OpenCL C
    .language_version:
      - 2
      - 0
    .max_flat_workgroup_size: 1024
    .name:           _ZN2at6native12_GLOBAL__N_130MultiMarginLoss_forward_kernelILi2EN3c108BFloat16EEEvPT0_PKS5_PKlS8_iibS5_
    .private_segment_fixed_size: 0
    .sgpr_count:     23
    .sgpr_spill_count: 0
    .symbol:         _ZN2at6native12_GLOBAL__N_130MultiMarginLoss_forward_kernelILi2EN3c108BFloat16EEEvPT0_PKS5_PKlS8_iibS5_.kd
    .uniform_work_group_size: 1
    .uses_dynamic_stack: false
    .vgpr_count:     10
    .vgpr_spill_count: 0
    .wavefront_size: 32
  - .args:
      - .address_space:  global
        .offset:         0
        .size:           8
        .value_kind:     global_buffer
      - .address_space:  global
        .offset:         8
        .size:           8
        .value_kind:     global_buffer
      - .address_space:  global
        .offset:         16
        .size:           8
        .value_kind:     global_buffer
      - .address_space:  global
        .offset:         24
        .size:           8
        .value_kind:     global_buffer
      - .address_space:  global
        .offset:         32
        .size:           8
        .value_kind:     global_buffer
      - .offset:         40
        .size:           4
        .value_kind:     by_value
      - .offset:         44
        .size:           4
        .value_kind:     by_value
      - .offset:         48
        .size:           1
        .value_kind:     by_value
      - .offset:         56
        .size:           8
        .value_kind:     by_value
      - .offset:         64
        .size:           1
        .value_kind:     by_value
      - .offset:         72
        .size:           4
        .value_kind:     hidden_block_count_x
      - .offset:         76
        .size:           4
        .value_kind:     hidden_block_count_y
      - .offset:         80
        .size:           4
        .value_kind:     hidden_block_count_z
      - .offset:         84
        .size:           2
        .value_kind:     hidden_group_size_x
      - .offset:         86
        .size:           2
        .value_kind:     hidden_group_size_y
      - .offset:         88
        .size:           2
        .value_kind:     hidden_group_size_z
      - .offset:         90
        .size:           2
        .value_kind:     hidden_remainder_x
      - .offset:         92
        .size:           2
        .value_kind:     hidden_remainder_y
      - .offset:         94
        .size:           2
        .value_kind:     hidden_remainder_z
      - .offset:         112
        .size:           8
        .value_kind:     hidden_global_offset_x
      - .offset:         120
        .size:           8
        .value_kind:     hidden_global_offset_y
      - .offset:         128
        .size:           8
        .value_kind:     hidden_global_offset_z
      - .offset:         136
        .size:           2
        .value_kind:     hidden_grid_dims
    .group_segment_fixed_size: 1024
    .kernarg_segment_align: 8
    .kernarg_segment_size: 328
    .language:       OpenCL C
    .language_version:
      - 2
      - 0
    .max_flat_workgroup_size: 1024
    .name:           _ZN2at6native12_GLOBAL__N_131MultiMarginLoss_backward_kernelILi1EdEEvPT0_PKS3_S6_PKlS6_iibS3_b
    .private_segment_fixed_size: 0
    .sgpr_count:     40
    .sgpr_spill_count: 0
    .symbol:         _ZN2at6native12_GLOBAL__N_131MultiMarginLoss_backward_kernelILi1EdEEvPT0_PKS3_S6_PKlS6_iibS3_b.kd
    .uniform_work_group_size: 1
    .uses_dynamic_stack: false
    .vgpr_count:     16
    .vgpr_spill_count: 0
    .wavefront_size: 32
  - .args:
      - .address_space:  global
        .offset:         0
        .size:           8
        .value_kind:     global_buffer
      - .address_space:  global
        .offset:         8
        .size:           8
        .value_kind:     global_buffer
      - .address_space:  global
        .offset:         16
        .size:           8
        .value_kind:     global_buffer
      - .address_space:  global
        .offset:         24
        .size:           8
        .value_kind:     global_buffer
      - .address_space:  global
        .offset:         32
        .size:           8
        .value_kind:     global_buffer
      - .offset:         40
        .size:           4
        .value_kind:     by_value
      - .offset:         44
        .size:           4
        .value_kind:     by_value
      - .offset:         48
        .size:           1
        .value_kind:     by_value
      - .offset:         56
        .size:           8
        .value_kind:     by_value
      - .offset:         64
        .size:           1
        .value_kind:     by_value
      - .offset:         72
        .size:           4
        .value_kind:     hidden_block_count_x
      - .offset:         76
        .size:           4
        .value_kind:     hidden_block_count_y
      - .offset:         80
        .size:           4
        .value_kind:     hidden_block_count_z
      - .offset:         84
        .size:           2
        .value_kind:     hidden_group_size_x
      - .offset:         86
        .size:           2
        .value_kind:     hidden_group_size_y
      - .offset:         88
        .size:           2
        .value_kind:     hidden_group_size_z
      - .offset:         90
        .size:           2
        .value_kind:     hidden_remainder_x
      - .offset:         92
        .size:           2
        .value_kind:     hidden_remainder_y
      - .offset:         94
        .size:           2
        .value_kind:     hidden_remainder_z
      - .offset:         112
        .size:           8
        .value_kind:     hidden_global_offset_x
      - .offset:         120
        .size:           8
        .value_kind:     hidden_global_offset_y
      - .offset:         128
        .size:           8
        .value_kind:     hidden_global_offset_z
      - .offset:         136
        .size:           2
        .value_kind:     hidden_grid_dims
    .group_segment_fixed_size: 1024
    .kernarg_segment_align: 8
    .kernarg_segment_size: 328
    .language:       OpenCL C
    .language_version:
      - 2
      - 0
    .max_flat_workgroup_size: 1024
    .name:           _ZN2at6native12_GLOBAL__N_131MultiMarginLoss_backward_kernelILi2EdEEvPT0_PKS3_S6_PKlS6_iibS3_b
    .private_segment_fixed_size: 0
    .sgpr_count:     40
    .sgpr_spill_count: 0
    .symbol:         _ZN2at6native12_GLOBAL__N_131MultiMarginLoss_backward_kernelILi2EdEEvPT0_PKS3_S6_PKlS6_iibS3_b.kd
    .uniform_work_group_size: 1
    .uses_dynamic_stack: false
    .vgpr_count:     16
    .vgpr_spill_count: 0
    .wavefront_size: 32
  - .args:
      - .address_space:  global
        .offset:         0
        .size:           8
        .value_kind:     global_buffer
      - .address_space:  global
        .offset:         8
        .size:           8
        .value_kind:     global_buffer
      - .address_space:  global
        .offset:         16
        .size:           8
        .value_kind:     global_buffer
      - .address_space:  global
        .offset:         24
        .size:           8
        .value_kind:     global_buffer
      - .address_space:  global
        .offset:         32
        .size:           8
        .value_kind:     global_buffer
      - .offset:         40
        .size:           4
        .value_kind:     by_value
      - .offset:         44
        .size:           4
        .value_kind:     by_value
      - .offset:         48
        .size:           1
        .value_kind:     by_value
      - .offset:         52
        .size:           4
        .value_kind:     by_value
      - .offset:         56
        .size:           1
        .value_kind:     by_value
      - .offset:         64
        .size:           4
        .value_kind:     hidden_block_count_x
      - .offset:         68
        .size:           4
        .value_kind:     hidden_block_count_y
      - .offset:         72
        .size:           4
        .value_kind:     hidden_block_count_z
      - .offset:         76
        .size:           2
        .value_kind:     hidden_group_size_x
      - .offset:         78
        .size:           2
        .value_kind:     hidden_group_size_y
      - .offset:         80
        .size:           2
        .value_kind:     hidden_group_size_z
      - .offset:         82
        .size:           2
        .value_kind:     hidden_remainder_x
      - .offset:         84
        .size:           2
        .value_kind:     hidden_remainder_y
      - .offset:         86
        .size:           2
        .value_kind:     hidden_remainder_z
      - .offset:         104
        .size:           8
        .value_kind:     hidden_global_offset_x
      - .offset:         112
        .size:           8
        .value_kind:     hidden_global_offset_y
      - .offset:         120
        .size:           8
        .value_kind:     hidden_global_offset_z
      - .offset:         128
        .size:           2
        .value_kind:     hidden_grid_dims
    .group_segment_fixed_size: 512
    .kernarg_segment_align: 8
    .kernarg_segment_size: 320
    .language:       OpenCL C
    .language_version:
      - 2
      - 0
    .max_flat_workgroup_size: 1024
    .name:           _ZN2at6native12_GLOBAL__N_131MultiMarginLoss_backward_kernelILi1EfEEvPT0_PKS3_S6_PKlS6_iibS3_b
    .private_segment_fixed_size: 0
    .sgpr_count:     34
    .sgpr_spill_count: 0
    .symbol:         _ZN2at6native12_GLOBAL__N_131MultiMarginLoss_backward_kernelILi1EfEEvPT0_PKS3_S6_PKlS6_iibS3_b.kd
    .uniform_work_group_size: 1
    .uses_dynamic_stack: false
    .vgpr_count:     12
    .vgpr_spill_count: 0
    .wavefront_size: 32
  - .args:
      - .address_space:  global
        .offset:         0
        .size:           8
        .value_kind:     global_buffer
      - .address_space:  global
        .offset:         8
        .size:           8
        .value_kind:     global_buffer
      - .address_space:  global
        .offset:         16
        .size:           8
        .value_kind:     global_buffer
      - .address_space:  global
        .offset:         24
        .size:           8
        .value_kind:     global_buffer
      - .address_space:  global
        .offset:         32
        .size:           8
        .value_kind:     global_buffer
      - .offset:         40
        .size:           4
        .value_kind:     by_value
      - .offset:         44
        .size:           4
        .value_kind:     by_value
      - .offset:         48
        .size:           1
        .value_kind:     by_value
      - .offset:         52
        .size:           4
        .value_kind:     by_value
      - .offset:         56
        .size:           1
        .value_kind:     by_value
      - .offset:         64
        .size:           4
        .value_kind:     hidden_block_count_x
      - .offset:         68
        .size:           4
        .value_kind:     hidden_block_count_y
      - .offset:         72
        .size:           4
        .value_kind:     hidden_block_count_z
      - .offset:         76
        .size:           2
        .value_kind:     hidden_group_size_x
      - .offset:         78
        .size:           2
        .value_kind:     hidden_group_size_y
      - .offset:         80
        .size:           2
        .value_kind:     hidden_group_size_z
      - .offset:         82
        .size:           2
        .value_kind:     hidden_remainder_x
      - .offset:         84
        .size:           2
        .value_kind:     hidden_remainder_y
      - .offset:         86
        .size:           2
        .value_kind:     hidden_remainder_z
      - .offset:         104
        .size:           8
        .value_kind:     hidden_global_offset_x
      - .offset:         112
        .size:           8
        .value_kind:     hidden_global_offset_y
      - .offset:         120
        .size:           8
        .value_kind:     hidden_global_offset_z
      - .offset:         128
        .size:           2
        .value_kind:     hidden_grid_dims
    .group_segment_fixed_size: 512
    .kernarg_segment_align: 8
    .kernarg_segment_size: 320
    .language:       OpenCL C
    .language_version:
      - 2
      - 0
    .max_flat_workgroup_size: 1024
    .name:           _ZN2at6native12_GLOBAL__N_131MultiMarginLoss_backward_kernelILi2EfEEvPT0_PKS3_S6_PKlS6_iibS3_b
    .private_segment_fixed_size: 0
    .sgpr_count:     34
    .sgpr_spill_count: 0
    .symbol:         _ZN2at6native12_GLOBAL__N_131MultiMarginLoss_backward_kernelILi2EfEEvPT0_PKS3_S6_PKlS6_iibS3_b.kd
    .uniform_work_group_size: 1
    .uses_dynamic_stack: false
    .vgpr_count:     12
    .vgpr_spill_count: 0
    .wavefront_size: 32
  - .args:
      - .address_space:  global
        .offset:         0
        .size:           8
        .value_kind:     global_buffer
      - .address_space:  global
        .offset:         8
        .size:           8
        .value_kind:     global_buffer
      - .address_space:  global
        .offset:         16
        .size:           8
        .value_kind:     global_buffer
      - .address_space:  global
        .offset:         24
        .size:           8
        .value_kind:     global_buffer
      - .address_space:  global
        .offset:         32
        .size:           8
        .value_kind:     global_buffer
      - .offset:         40
        .size:           4
        .value_kind:     by_value
      - .offset:         44
        .size:           4
        .value_kind:     by_value
      - .offset:         48
        .size:           1
        .value_kind:     by_value
      - .offset:         50
        .size:           2
        .value_kind:     by_value
      - .offset:         52
        .size:           1
        .value_kind:     by_value
      - .offset:         56
        .size:           4
        .value_kind:     hidden_block_count_x
      - .offset:         60
        .size:           4
        .value_kind:     hidden_block_count_y
      - .offset:         64
        .size:           4
        .value_kind:     hidden_block_count_z
      - .offset:         68
        .size:           2
        .value_kind:     hidden_group_size_x
      - .offset:         70
        .size:           2
        .value_kind:     hidden_group_size_y
      - .offset:         72
        .size:           2
        .value_kind:     hidden_group_size_z
      - .offset:         74
        .size:           2
        .value_kind:     hidden_remainder_x
      - .offset:         76
        .size:           2
        .value_kind:     hidden_remainder_y
      - .offset:         78
        .size:           2
        .value_kind:     hidden_remainder_z
      - .offset:         96
        .size:           8
        .value_kind:     hidden_global_offset_x
      - .offset:         104
        .size:           8
        .value_kind:     hidden_global_offset_y
      - .offset:         112
        .size:           8
        .value_kind:     hidden_global_offset_z
      - .offset:         120
        .size:           2
        .value_kind:     hidden_grid_dims
    .group_segment_fixed_size: 512
    .kernarg_segment_align: 8
    .kernarg_segment_size: 312
    .language:       OpenCL C
    .language_version:
      - 2
      - 0
    .max_flat_workgroup_size: 1024
    .name:           _ZN2at6native12_GLOBAL__N_131MultiMarginLoss_backward_kernelILi1EN3c104HalfEEEvPT0_PKS5_S8_PKlS8_iibS5_b
    .private_segment_fixed_size: 0
    .sgpr_count:     32
    .sgpr_spill_count: 0
    .symbol:         _ZN2at6native12_GLOBAL__N_131MultiMarginLoss_backward_kernelILi1EN3c104HalfEEEvPT0_PKS5_S8_PKlS8_iibS5_b.kd
    .uniform_work_group_size: 1
    .uses_dynamic_stack: false
    .vgpr_count:     14
    .vgpr_spill_count: 0
    .wavefront_size: 32
  - .args:
      - .address_space:  global
        .offset:         0
        .size:           8
        .value_kind:     global_buffer
      - .address_space:  global
        .offset:         8
        .size:           8
        .value_kind:     global_buffer
      - .address_space:  global
        .offset:         16
        .size:           8
        .value_kind:     global_buffer
      - .address_space:  global
        .offset:         24
        .size:           8
        .value_kind:     global_buffer
      - .address_space:  global
        .offset:         32
        .size:           8
        .value_kind:     global_buffer
      - .offset:         40
        .size:           4
        .value_kind:     by_value
      - .offset:         44
        .size:           4
        .value_kind:     by_value
      - .offset:         48
        .size:           1
        .value_kind:     by_value
      - .offset:         50
        .size:           2
        .value_kind:     by_value
      - .offset:         52
        .size:           1
        .value_kind:     by_value
      - .offset:         56
        .size:           4
        .value_kind:     hidden_block_count_x
      - .offset:         60
        .size:           4
        .value_kind:     hidden_block_count_y
      - .offset:         64
        .size:           4
        .value_kind:     hidden_block_count_z
      - .offset:         68
        .size:           2
        .value_kind:     hidden_group_size_x
      - .offset:         70
        .size:           2
        .value_kind:     hidden_group_size_y
      - .offset:         72
        .size:           2
        .value_kind:     hidden_group_size_z
      - .offset:         74
        .size:           2
        .value_kind:     hidden_remainder_x
      - .offset:         76
        .size:           2
        .value_kind:     hidden_remainder_y
      - .offset:         78
        .size:           2
        .value_kind:     hidden_remainder_z
      - .offset:         96
        .size:           8
        .value_kind:     hidden_global_offset_x
      - .offset:         104
        .size:           8
        .value_kind:     hidden_global_offset_y
      - .offset:         112
        .size:           8
        .value_kind:     hidden_global_offset_z
      - .offset:         120
        .size:           2
        .value_kind:     hidden_grid_dims
    .group_segment_fixed_size: 512
    .kernarg_segment_align: 8
    .kernarg_segment_size: 312
    .language:       OpenCL C
    .language_version:
      - 2
      - 0
    .max_flat_workgroup_size: 1024
    .name:           _ZN2at6native12_GLOBAL__N_131MultiMarginLoss_backward_kernelILi2EN3c104HalfEEEvPT0_PKS5_S8_PKlS8_iibS5_b
    .private_segment_fixed_size: 0
    .sgpr_count:     32
    .sgpr_spill_count: 0
    .symbol:         _ZN2at6native12_GLOBAL__N_131MultiMarginLoss_backward_kernelILi2EN3c104HalfEEEvPT0_PKS5_S8_PKlS8_iibS5_b.kd
    .uniform_work_group_size: 1
    .uses_dynamic_stack: false
    .vgpr_count:     14
    .vgpr_spill_count: 0
    .wavefront_size: 32
  - .args:
      - .address_space:  global
        .offset:         0
        .size:           8
        .value_kind:     global_buffer
      - .address_space:  global
        .offset:         8
        .size:           8
        .value_kind:     global_buffer
      - .address_space:  global
        .offset:         16
        .size:           8
        .value_kind:     global_buffer
      - .address_space:  global
        .offset:         24
        .size:           8
        .value_kind:     global_buffer
      - .address_space:  global
        .offset:         32
        .size:           8
        .value_kind:     global_buffer
      - .offset:         40
        .size:           4
        .value_kind:     by_value
      - .offset:         44
        .size:           4
        .value_kind:     by_value
      - .offset:         48
        .size:           1
        .value_kind:     by_value
      - .offset:         50
        .size:           2
        .value_kind:     by_value
      - .offset:         52
        .size:           1
        .value_kind:     by_value
      - .offset:         56
        .size:           4
        .value_kind:     hidden_block_count_x
      - .offset:         60
        .size:           4
        .value_kind:     hidden_block_count_y
      - .offset:         64
        .size:           4
        .value_kind:     hidden_block_count_z
      - .offset:         68
        .size:           2
        .value_kind:     hidden_group_size_x
      - .offset:         70
        .size:           2
        .value_kind:     hidden_group_size_y
      - .offset:         72
        .size:           2
        .value_kind:     hidden_group_size_z
      - .offset:         74
        .size:           2
        .value_kind:     hidden_remainder_x
      - .offset:         76
        .size:           2
        .value_kind:     hidden_remainder_y
      - .offset:         78
        .size:           2
        .value_kind:     hidden_remainder_z
      - .offset:         96
        .size:           8
        .value_kind:     hidden_global_offset_x
      - .offset:         104
        .size:           8
        .value_kind:     hidden_global_offset_y
      - .offset:         112
        .size:           8
        .value_kind:     hidden_global_offset_z
      - .offset:         120
        .size:           2
        .value_kind:     hidden_grid_dims
    .group_segment_fixed_size: 512
    .kernarg_segment_align: 8
    .kernarg_segment_size: 312
    .language:       OpenCL C
    .language_version:
      - 2
      - 0
    .max_flat_workgroup_size: 1024
    .name:           _ZN2at6native12_GLOBAL__N_131MultiMarginLoss_backward_kernelILi1EN3c108BFloat16EEEvPT0_PKS5_S8_PKlS8_iibS5_b
    .private_segment_fixed_size: 0
    .sgpr_count:     34
    .sgpr_spill_count: 0
    .symbol:         _ZN2at6native12_GLOBAL__N_131MultiMarginLoss_backward_kernelILi1EN3c108BFloat16EEEvPT0_PKS5_S8_PKlS8_iibS5_b.kd
    .uniform_work_group_size: 1
    .uses_dynamic_stack: false
    .vgpr_count:     12
    .vgpr_spill_count: 0
    .wavefront_size: 32
  - .args:
      - .address_space:  global
        .offset:         0
        .size:           8
        .value_kind:     global_buffer
      - .address_space:  global
        .offset:         8
        .size:           8
        .value_kind:     global_buffer
      - .address_space:  global
        .offset:         16
        .size:           8
        .value_kind:     global_buffer
      - .address_space:  global
        .offset:         24
        .size:           8
        .value_kind:     global_buffer
      - .address_space:  global
        .offset:         32
        .size:           8
        .value_kind:     global_buffer
      - .offset:         40
        .size:           4
        .value_kind:     by_value
      - .offset:         44
        .size:           4
        .value_kind:     by_value
      - .offset:         48
        .size:           1
        .value_kind:     by_value
      - .offset:         50
        .size:           2
        .value_kind:     by_value
      - .offset:         52
        .size:           1
        .value_kind:     by_value
      - .offset:         56
        .size:           4
        .value_kind:     hidden_block_count_x
      - .offset:         60
        .size:           4
        .value_kind:     hidden_block_count_y
      - .offset:         64
        .size:           4
        .value_kind:     hidden_block_count_z
      - .offset:         68
        .size:           2
        .value_kind:     hidden_group_size_x
      - .offset:         70
        .size:           2
        .value_kind:     hidden_group_size_y
      - .offset:         72
        .size:           2
        .value_kind:     hidden_group_size_z
      - .offset:         74
        .size:           2
        .value_kind:     hidden_remainder_x
      - .offset:         76
        .size:           2
        .value_kind:     hidden_remainder_y
      - .offset:         78
        .size:           2
        .value_kind:     hidden_remainder_z
      - .offset:         96
        .size:           8
        .value_kind:     hidden_global_offset_x
      - .offset:         104
        .size:           8
        .value_kind:     hidden_global_offset_y
      - .offset:         112
        .size:           8
        .value_kind:     hidden_global_offset_z
      - .offset:         120
        .size:           2
        .value_kind:     hidden_grid_dims
    .group_segment_fixed_size: 512
    .kernarg_segment_align: 8
    .kernarg_segment_size: 312
    .language:       OpenCL C
    .language_version:
      - 2
      - 0
    .max_flat_workgroup_size: 1024
    .name:           _ZN2at6native12_GLOBAL__N_131MultiMarginLoss_backward_kernelILi2EN3c108BFloat16EEEvPT0_PKS5_S8_PKlS8_iibS5_b
    .private_segment_fixed_size: 0
    .sgpr_count:     34
    .sgpr_spill_count: 0
    .symbol:         _ZN2at6native12_GLOBAL__N_131MultiMarginLoss_backward_kernelILi2EN3c108BFloat16EEEvPT0_PKS5_S8_PKlS8_iibS5_b.kd
    .uniform_work_group_size: 1
    .uses_dynamic_stack: false
    .vgpr_count:     12
    .vgpr_spill_count: 0
    .wavefront_size: 32
amdhsa.target:   amdgcn-amd-amdhsa--gfx1250
amdhsa.version:
  - 1
  - 2
...

	.end_amdgpu_metadata
